;; amdgpu-corpus repo=ROCm/rocFFT kind=compiled arch=gfx1201 opt=O3
	.text
	.amdgcn_target "amdgcn-amd-amdhsa--gfx1201"
	.amdhsa_code_object_version 6
	.protected	fft_rtc_back_len121_factors_11_11_wgs_121_tpt_11_dp_ip_CI_sbcc_twdbase6_3step ; -- Begin function fft_rtc_back_len121_factors_11_11_wgs_121_tpt_11_dp_ip_CI_sbcc_twdbase6_3step
	.globl	fft_rtc_back_len121_factors_11_11_wgs_121_tpt_11_dp_ip_CI_sbcc_twdbase6_3step
	.p2align	8
	.type	fft_rtc_back_len121_factors_11_11_wgs_121_tpt_11_dp_ip_CI_sbcc_twdbase6_3step,@function
fft_rtc_back_len121_factors_11_11_wgs_121_tpt_11_dp_ip_CI_sbcc_twdbase6_3step: ; @fft_rtc_back_len121_factors_11_11_wgs_121_tpt_11_dp_ip_CI_sbcc_twdbase6_3step
; %bb.0:
	s_clause 0x1
	s_load_b64 s[12:13], s[0:1], 0x0
	s_load_b256 s[4:11], s[0:1], 0x8
	s_mov_b32 s3, exec_lo
	v_cmpx_gt_u32_e32 0xc0, v0
	s_cbranch_execz .LBB0_3
; %bb.1:
	v_lshlrev_b32_e32 v5, 4, v0
	v_add_co_u32 v1, s2, 0xffffff87, v0
	s_delay_alu instid0(VALU_DEP_1) | instskip(SKIP_1) | instid1(VALU_DEP_3)
	v_add_co_ci_u32_e64 v2, null, 0, -1, s2
	s_wait_kmcnt 0x0
	v_add_co_u32 v3, s2, s4, v5
	s_wait_alu 0xf1ff
	v_add_co_ci_u32_e64 v4, null, s5, 0, s2
	v_add3_u32 v5, v5, 0, 0x5330
	s_mov_b32 s4, 0
.LBB0_2:                                ; =>This Inner Loop Header: Depth=1
	global_load_b128 v[6:9], v[3:4], off
	v_add_co_u32 v1, vcc_lo, 0x79, v1
	s_wait_alu 0xfffd
	v_add_co_ci_u32_e32 v2, vcc_lo, 0, v2, vcc_lo
	v_add_co_u32 v3, vcc_lo, 0x790, v3
	s_wait_alu 0xfffd
	v_add_co_ci_u32_e32 v4, vcc_lo, 0, v4, vcc_lo
	s_delay_alu instid0(VALU_DEP_3) | instskip(SKIP_1) | instid1(VALU_DEP_1)
	v_cmp_lt_u64_e64 s2, 0x46, v[1:2]
	s_wait_alu 0xfffe
	s_or_b32 s4, s2, s4
	s_wait_loadcnt 0x0
	ds_store_2addr_b64 v5, v[6:7], v[8:9] offset1:1
	v_add_nc_u32_e32 v5, 0x790, v5
	s_wait_alu 0xfffe
	s_and_not1_b32 exec_lo, exec_lo, s4
	s_cbranch_execnz .LBB0_2
.LBB0_3:
	s_or_b32 exec_lo, exec_lo, s3
	s_mov_b32 s19, 0
	s_wait_kmcnt 0x0
	s_load_b64 s[4:5], s[0:1], 0x58
	s_mov_b32 s0, 0x5d161400
	s_movk_i32 s1, 0x54
	s_mov_b32 s18, s19
	s_load_b64 s[16:17], s[8:9], 0x8
	s_add_nc_u64 s[0:1], s[18:19], s[0:1]
	s_mov_b64 s[24:25], 0
	s_add_co_i32 s1, s1, 0x1745d120
	s_delay_alu instid0(SALU_CYCLE_1)
	s_mul_u64 s[2:3], s[0:1], -11
	s_wait_alu 0xfffe
	s_mul_hi_u32 s15, s0, s3
	s_mul_i32 s14, s0, s3
	s_mul_hi_u32 s18, s0, s2
	s_mul_hi_u32 s20, s1, s2
	s_mul_i32 s2, s1, s2
	s_add_nc_u64 s[14:15], s[18:19], s[14:15]
	s_mul_hi_u32 s21, s1, s3
	s_wait_alu 0xfffe
	s_add_co_u32 s2, s14, s2
	s_add_co_ci_u32 s18, s15, s20
	s_add_co_ci_u32 s15, s21, 0
	s_mul_i32 s14, s1, s3
	s_delay_alu instid0(SALU_CYCLE_1) | instskip(SKIP_4) | instid1(VALU_DEP_1)
	s_add_nc_u64 s[2:3], s[18:19], s[14:15]
	s_wait_kmcnt 0x0
	s_add_nc_u64 s[14:15], s[16:17], -1
	s_wait_alu 0xfffe
	v_add_co_u32 v1, s0, s0, s2
	s_cmp_lg_u32 s0, 0
	s_add_co_ci_u32 s2, s1, s3
	s_delay_alu instid0(VALU_DEP_1)
	v_readfirstlane_b32 s3, v1
	s_wait_alu 0xfffe
	s_mul_hi_u32 s1, s14, s2
	s_mul_i32 s0, s14, s2
	s_mul_hi_u32 s20, s15, s2
	s_mul_i32 s2, s15, s2
	;; [unrolled: 2-line block ×3, first 2 shown]
	s_wait_alu 0xfffe
	s_add_nc_u64 s[0:1], s[18:19], s[0:1]
	s_mul_hi_u32 s3, s15, s3
	s_wait_alu 0xfffe
	s_add_co_u32 s0, s0, s21
	s_add_co_ci_u32 s18, s1, s3
	s_add_co_ci_u32 s3, s20, 0
	s_wait_alu 0xfffe
	s_add_nc_u64 s[0:1], s[18:19], s[2:3]
	s_wait_alu 0xfffe
	s_mul_u64 s[2:3], s[0:1], 11
	s_wait_alu 0xfffe
	v_sub_co_u32 v1, s2, s14, s2
	s_delay_alu instid0(VALU_DEP_1) | instskip(SKIP_1) | instid1(VALU_DEP_1)
	s_cmp_lg_u32 s2, 0
	s_sub_co_ci_u32 s18, s15, s3
	v_sub_co_u32 v2, s14, v1, 11
	s_delay_alu instid0(VALU_DEP_1) | instskip(SKIP_2) | instid1(VALU_DEP_2)
	s_cmp_lg_u32 s14, 0
	v_readfirstlane_b32 s21, v1
	s_sub_co_ci_u32 s14, s18, 0
	v_readfirstlane_b32 s2, v2
	s_delay_alu instid0(VALU_DEP_1)
	s_cmp_gt_u32 s2, 10
	s_add_nc_u64 s[2:3], s[0:1], 1
	s_cselect_b32 s20, -1, 0
	s_wait_alu 0xfffe
	s_cmp_eq_u32 s14, 0
	s_add_nc_u64 s[14:15], s[0:1], 2
	s_cselect_b32 s20, s20, -1
	s_delay_alu instid0(SALU_CYCLE_1)
	s_cmp_lg_u32 s20, 0
	s_wait_alu 0xfffe
	s_cselect_b32 s2, s14, s2
	s_cselect_b32 s3, s15, s3
	s_cmp_gt_u32 s21, 10
	s_cselect_b32 s14, -1, 0
	s_cmp_eq_u32 s18, 0
	s_mov_b32 s18, ttmp9
	s_wait_alu 0xfffe
	s_cselect_b32 s14, s14, -1
	s_wait_alu 0xfffe
	s_cmp_lg_u32 s14, 0
	s_cselect_b32 s1, s3, s1
	s_cselect_b32 s0, s2, s0
	s_wait_alu 0xfffe
	s_add_nc_u64 s[22:23], s[0:1], 1
	s_delay_alu instid0(SALU_CYCLE_1) | instskip(NEXT) | instid1(VALU_DEP_1)
	v_cmp_lt_u64_e64 s0, s[18:19], s[22:23]
	s_and_b32 vcc_lo, exec_lo, s0
	s_wait_alu 0xfffe
	s_cbranch_vccnz .LBB0_5
; %bb.4:
	v_cvt_f32_u32_e32 v1, s22
	s_sub_co_i32 s1, 0, s22
	s_mov_b32 s25, s19
	s_delay_alu instid0(VALU_DEP_1) | instskip(NEXT) | instid1(TRANS32_DEP_1)
	v_rcp_iflag_f32_e32 v1, v1
	v_mul_f32_e32 v1, 0x4f7ffffe, v1
	s_delay_alu instid0(VALU_DEP_1) | instskip(NEXT) | instid1(VALU_DEP_1)
	v_cvt_u32_f32_e32 v1, v1
	v_readfirstlane_b32 s0, v1
	s_wait_alu 0xfffe
	s_delay_alu instid0(VALU_DEP_1)
	s_mul_i32 s1, s1, s0
	s_wait_alu 0xfffe
	s_mul_hi_u32 s1, s0, s1
	s_wait_alu 0xfffe
	s_add_co_i32 s0, s0, s1
	s_wait_alu 0xfffe
	s_mul_hi_u32 s0, s18, s0
	s_wait_alu 0xfffe
	s_mul_i32 s1, s0, s22
	s_add_co_i32 s2, s0, 1
	s_wait_alu 0xfffe
	s_sub_co_i32 s1, s18, s1
	s_wait_alu 0xfffe
	s_sub_co_i32 s3, s1, s22
	s_cmp_ge_u32 s1, s22
	s_cselect_b32 s0, s2, s0
	s_wait_alu 0xfffe
	s_cselect_b32 s1, s3, s1
	s_add_co_i32 s2, s0, 1
	s_wait_alu 0xfffe
	s_cmp_ge_u32 s1, s22
	s_cselect_b32 s24, s2, s0
.LBB0_5:
	s_load_b128 s[0:3], s[10:11], 0x0
	v_cmp_lt_u64_e64 s20, s[6:7], 3
	s_mul_u64 s[14:15], s[24:25], s[22:23]
	s_wait_alu 0xfffe
	s_sub_nc_u64 s[14:15], s[18:19], s[14:15]
	s_wait_alu 0xfffe
	s_mul_u64 s[14:15], s[14:15], 11
	s_and_b32 vcc_lo, exec_lo, s20
	s_wait_kmcnt 0x0
	s_wait_alu 0xfffe
	s_mul_u64 s[20:21], s[2:3], s[14:15]
	s_cbranch_vccnz .LBB0_15
; %bb.6:
	s_add_nc_u64 s[26:27], s[10:11], 16
	s_add_nc_u64 s[8:9], s[8:9], 16
	s_mov_b64 s[28:29], 2
	s_mov_b32 s30, 0
.LBB0_7:                                ; =>This Inner Loop Header: Depth=1
	s_load_b64 s[34:35], s[8:9], 0x0
                                        ; implicit-def: $sgpr38_sgpr39
	s_wait_kmcnt 0x0
	s_or_b64 s[36:37], s[24:25], s[34:35]
	s_delay_alu instid0(SALU_CYCLE_1)
	s_mov_b32 s31, s37
	s_mov_b32 s37, -1
	s_wait_alu 0xfffe
	s_cmp_lg_u64 s[30:31], 0
	s_cbranch_scc0 .LBB0_9
; %bb.8:                                ;   in Loop: Header=BB0_7 Depth=1
	s_cvt_f32_u32 s31, s34
	s_cvt_f32_u32 s33, s35
	s_sub_nc_u64 s[40:41], 0, s[34:35]
	s_mov_b32 s37, 0
	s_mov_b32 s45, s30
	s_wait_alu 0xfffe
	s_fmamk_f32 s31, s33, 0x4f800000, s31
	s_wait_alu 0xfffe
	s_delay_alu instid0(SALU_CYCLE_2) | instskip(NEXT) | instid1(TRANS32_DEP_1)
	v_s_rcp_f32 s31, s31
	s_mul_f32 s31, s31, 0x5f7ffffc
	s_wait_alu 0xfffe
	s_delay_alu instid0(SALU_CYCLE_2) | instskip(NEXT) | instid1(SALU_CYCLE_3)
	s_mul_f32 s33, s31, 0x2f800000
	s_trunc_f32 s33, s33
	s_delay_alu instid0(SALU_CYCLE_3) | instskip(SKIP_2) | instid1(SALU_CYCLE_1)
	s_fmamk_f32 s31, s33, 0xcf800000, s31
	s_cvt_u32_f32 s39, s33
	s_wait_alu 0xfffe
	s_cvt_u32_f32 s38, s31
	s_wait_alu 0xfffe
	s_delay_alu instid0(SALU_CYCLE_2)
	s_mul_u64 s[42:43], s[40:41], s[38:39]
	s_wait_alu 0xfffe
	s_mul_hi_u32 s47, s38, s43
	s_mul_i32 s46, s38, s43
	s_mul_hi_u32 s36, s38, s42
	s_mul_i32 s33, s39, s42
	s_add_nc_u64 s[46:47], s[36:37], s[46:47]
	s_mul_hi_u32 s31, s39, s42
	s_mul_hi_u32 s48, s39, s43
	s_add_co_u32 s33, s46, s33
	s_wait_alu 0xfffe
	s_add_co_ci_u32 s44, s47, s31
	s_mul_i32 s42, s39, s43
	s_add_co_ci_u32 s43, s48, 0
	s_wait_alu 0xfffe
	s_add_nc_u64 s[42:43], s[44:45], s[42:43]
	s_wait_alu 0xfffe
	v_add_co_u32 v1, s31, s38, s42
	s_delay_alu instid0(VALU_DEP_1) | instskip(SKIP_1) | instid1(VALU_DEP_1)
	s_cmp_lg_u32 s31, 0
	s_add_co_ci_u32 s39, s39, s43
	v_readfirstlane_b32 s38, v1
	s_mov_b32 s43, s30
	s_wait_alu 0xfffe
	s_delay_alu instid0(VALU_DEP_1)
	s_mul_u64 s[40:41], s[40:41], s[38:39]
	s_wait_alu 0xfffe
	s_mul_hi_u32 s45, s38, s41
	s_mul_i32 s44, s38, s41
	s_mul_hi_u32 s36, s38, s40
	s_mul_i32 s33, s39, s40
	s_add_nc_u64 s[44:45], s[36:37], s[44:45]
	s_mul_hi_u32 s31, s39, s40
	s_mul_hi_u32 s38, s39, s41
	s_add_co_u32 s33, s44, s33
	s_wait_alu 0xfffe
	s_add_co_ci_u32 s42, s45, s31
	s_mul_i32 s40, s39, s41
	s_add_co_ci_u32 s41, s38, 0
	s_wait_alu 0xfffe
	s_add_nc_u64 s[40:41], s[42:43], s[40:41]
	s_wait_alu 0xfffe
	v_add_co_u32 v1, s31, v1, s40
	s_delay_alu instid0(VALU_DEP_1) | instskip(SKIP_1) | instid1(VALU_DEP_1)
	s_cmp_lg_u32 s31, 0
	s_add_co_ci_u32 s31, s39, s41
	v_readfirstlane_b32 s33, v1
	s_wait_alu 0xfffe
	s_mul_hi_u32 s39, s24, s31
	s_mul_i32 s38, s24, s31
	s_mul_hi_u32 s41, s25, s31
	s_mul_i32 s40, s25, s31
	;; [unrolled: 2-line block ×3, first 2 shown]
	s_wait_alu 0xfffe
	s_add_nc_u64 s[38:39], s[36:37], s[38:39]
	s_mul_hi_u32 s33, s25, s33
	s_wait_alu 0xfffe
	s_add_co_u32 s31, s38, s31
	s_add_co_ci_u32 s42, s39, s33
	s_add_co_ci_u32 s41, s41, 0
	s_wait_alu 0xfffe
	s_add_nc_u64 s[38:39], s[42:43], s[40:41]
	s_wait_alu 0xfffe
	s_mul_u64 s[40:41], s[34:35], s[38:39]
	s_add_nc_u64 s[42:43], s[38:39], 1
	s_wait_alu 0xfffe
	v_sub_co_u32 v1, s31, s24, s40
	s_sub_co_i32 s33, s25, s41
	s_cmp_lg_u32 s31, 0
	s_add_nc_u64 s[44:45], s[38:39], 2
	s_delay_alu instid0(VALU_DEP_1) | instskip(SKIP_2) | instid1(VALU_DEP_1)
	v_sub_co_u32 v2, s36, v1, s34
	s_sub_co_ci_u32 s33, s33, s35
	s_cmp_lg_u32 s36, 0
	v_readfirstlane_b32 s36, v2
	s_sub_co_ci_u32 s33, s33, 0
	s_delay_alu instid0(SALU_CYCLE_1) | instskip(SKIP_1) | instid1(VALU_DEP_1)
	s_cmp_ge_u32 s33, s35
	s_cselect_b32 s40, -1, 0
	s_cmp_ge_u32 s36, s34
	s_cselect_b32 s36, -1, 0
	s_cmp_eq_u32 s33, s35
	s_wait_alu 0xfffe
	s_cselect_b32 s33, s36, s40
	s_delay_alu instid0(SALU_CYCLE_1)
	s_cmp_lg_u32 s33, 0
	s_cselect_b32 s33, s44, s42
	s_cselect_b32 s36, s45, s43
	s_cmp_lg_u32 s31, 0
	v_readfirstlane_b32 s31, v1
	s_sub_co_ci_u32 s40, s25, s41
	s_wait_alu 0xfffe
	s_cmp_ge_u32 s40, s35
	s_cselect_b32 s41, -1, 0
	s_cmp_ge_u32 s31, s34
	s_cselect_b32 s31, -1, 0
	s_cmp_eq_u32 s40, s35
	s_wait_alu 0xfffe
	s_cselect_b32 s31, s31, s41
	s_wait_alu 0xfffe
	s_cmp_lg_u32 s31, 0
	s_cselect_b32 s39, s36, s39
	s_cselect_b32 s38, s33, s38
.LBB0_9:                                ;   in Loop: Header=BB0_7 Depth=1
	s_and_not1_b32 vcc_lo, exec_lo, s37
	s_wait_alu 0xfffe
	s_cbranch_vccnz .LBB0_11
; %bb.10:                               ;   in Loop: Header=BB0_7 Depth=1
	v_cvt_f32_u32_e32 v1, s34
	s_sub_co_i32 s33, 0, s34
	s_mov_b32 s39, s30
	s_delay_alu instid0(VALU_DEP_1) | instskip(NEXT) | instid1(TRANS32_DEP_1)
	v_rcp_iflag_f32_e32 v1, v1
	v_mul_f32_e32 v1, 0x4f7ffffe, v1
	s_delay_alu instid0(VALU_DEP_1) | instskip(NEXT) | instid1(VALU_DEP_1)
	v_cvt_u32_f32_e32 v1, v1
	v_readfirstlane_b32 s31, v1
	s_delay_alu instid0(VALU_DEP_1) | instskip(NEXT) | instid1(SALU_CYCLE_1)
	s_mul_i32 s33, s33, s31
	s_mul_hi_u32 s33, s31, s33
	s_delay_alu instid0(SALU_CYCLE_1)
	s_add_co_i32 s31, s31, s33
	s_wait_alu 0xfffe
	s_mul_hi_u32 s31, s24, s31
	s_wait_alu 0xfffe
	s_mul_i32 s33, s31, s34
	s_add_co_i32 s36, s31, 1
	s_sub_co_i32 s33, s24, s33
	s_delay_alu instid0(SALU_CYCLE_1)
	s_sub_co_i32 s37, s33, s34
	s_cmp_ge_u32 s33, s34
	s_cselect_b32 s31, s36, s31
	s_cselect_b32 s33, s37, s33
	s_wait_alu 0xfffe
	s_add_co_i32 s36, s31, 1
	s_cmp_ge_u32 s33, s34
	s_cselect_b32 s38, s36, s31
.LBB0_11:                               ;   in Loop: Header=BB0_7 Depth=1
	s_load_b64 s[36:37], s[26:27], 0x0
	s_add_nc_u64 s[28:29], s[28:29], 1
	s_mul_u64 s[22:23], s[34:35], s[22:23]
	s_wait_alu 0xfffe
	v_cmp_ge_u64_e64 s31, s[28:29], s[6:7]
	s_mul_u64 s[34:35], s[38:39], s[34:35]
	s_add_nc_u64 s[26:27], s[26:27], 8
	s_wait_alu 0xfffe
	s_sub_nc_u64 s[24:25], s[24:25], s[34:35]
	s_add_nc_u64 s[8:9], s[8:9], 8
	s_and_b32 vcc_lo, exec_lo, s31
	s_wait_kmcnt 0x0
	s_wait_alu 0xfffe
	s_mul_u64 s[24:25], s[36:37], s[24:25]
	s_wait_alu 0xfffe
	s_add_nc_u64 s[20:21], s[24:25], s[20:21]
	s_cbranch_vccnz .LBB0_13
; %bb.12:                               ;   in Loop: Header=BB0_7 Depth=1
	s_mov_b64 s[24:25], s[38:39]
	s_branch .LBB0_7
.LBB0_13:
	v_cmp_lt_u64_e64 s8, s[18:19], s[22:23]
	s_mov_b64 s[24:25], 0
	s_delay_alu instid0(VALU_DEP_1)
	s_and_b32 vcc_lo, exec_lo, s8
	s_wait_alu 0xfffe
	s_cbranch_vccnz .LBB0_15
; %bb.14:
	v_cvt_f32_u32_e32 v1, s22
	s_sub_co_i32 s9, 0, s22
	s_mov_b32 s25, 0
	s_delay_alu instid0(VALU_DEP_1) | instskip(NEXT) | instid1(TRANS32_DEP_1)
	v_rcp_iflag_f32_e32 v1, v1
	v_mul_f32_e32 v1, 0x4f7ffffe, v1
	s_delay_alu instid0(VALU_DEP_1) | instskip(NEXT) | instid1(VALU_DEP_1)
	v_cvt_u32_f32_e32 v1, v1
	v_readfirstlane_b32 s8, v1
	s_delay_alu instid0(VALU_DEP_1) | instskip(NEXT) | instid1(SALU_CYCLE_1)
	s_mul_i32 s9, s9, s8
	s_mul_hi_u32 s9, s8, s9
	s_delay_alu instid0(SALU_CYCLE_1) | instskip(NEXT) | instid1(SALU_CYCLE_1)
	s_add_co_i32 s8, s8, s9
	s_mul_hi_u32 s8, s18, s8
	s_delay_alu instid0(SALU_CYCLE_1) | instskip(NEXT) | instid1(SALU_CYCLE_1)
	s_mul_i32 s9, s8, s22
	s_sub_co_i32 s9, s18, s9
	s_add_co_i32 s18, s8, 1
	s_sub_co_i32 s19, s9, s22
	s_cmp_ge_u32 s9, s22
	s_wait_alu 0xfffe
	s_cselect_b32 s8, s18, s8
	s_cselect_b32 s9, s19, s9
	s_add_co_i32 s18, s8, 1
	s_cmp_ge_u32 s9, s22
	s_wait_alu 0xfffe
	s_cselect_b32 s24, s18, s8
.LBB0_15:
	v_mul_hi_u32 v46, 0x1745d175, v0
	s_lshl_b64 s[6:7], s[6:7], 3
	s_add_nc_u64 s[8:9], s[14:15], 11
	s_wait_alu 0xfffe
	s_add_nc_u64 s[6:7], s[10:11], s[6:7]
	v_cmp_le_u64_e64 s9, s[8:9], s[16:17]
	s_load_b64 s[6:7], s[6:7], 0x0
	s_delay_alu instid0(VALU_DEP_2)
	v_dual_mov_b32 v34, 0 :: v_dual_lshlrev_b32 v49, 4, v46
	v_mul_u32_u24_e32 v1, 11, v46
	v_add_nc_u32_e32 v47, 11, v46
	v_add_nc_u32_e32 v45, 22, v46
	;; [unrolled: 1-line block ×4, first 2 shown]
	v_sub_nc_u32_e32 v48, v0, v1
	v_add_nc_u32_e32 v42, 55, v46
	v_add_nc_u32_e32 v41, 0x42, v46
	;; [unrolled: 1-line block ×4, first 2 shown]
	v_add_co_u32 v0, s8, s14, v48
	s_wait_alu 0xf1ff
	v_add_co_ci_u32_e64 v1, null, s15, 0, s8
	v_mul_lo_u32 v50, 0x790, v48
	v_add_nc_u32_e32 v38, 0x63, v46
	v_add_nc_u32_e32 v37, 0x6e, v46
	s_delay_alu instid0(VALU_DEP_4)
	v_cmp_gt_u64_e32 vcc_lo, s[16:17], v[0:1]
	s_wait_kmcnt 0x0
	s_mul_u64 s[6:7], s[6:7], s[24:25]
	s_mov_b32 s8, 0
	s_wait_alu 0xfffe
	s_add_nc_u64 s[6:7], s[6:7], s[20:21]
	s_or_b32 s33, s9, vcc_lo
	s_delay_alu instid0(SALU_CYCLE_1)
	s_and_saveexec_b32 s9, s33
	s_cbranch_execz .LBB0_17
; %bb.16:
	v_mad_co_u64_u32 v[0:1], null, s2, v48, 0
	v_mad_co_u64_u32 v[2:3], null, s0, v46, 0
	;; [unrolled: 1-line block ×5, first 2 shown]
	s_delay_alu instid0(VALU_DEP_4) | instskip(NEXT) | instid1(VALU_DEP_4)
	v_mad_co_u64_u32 v[6:7], null, s3, v48, v[1:2]
	v_mov_b32_e32 v1, v5
	v_mad_co_u64_u32 v[10:11], null, s1, v46, v[3:4]
	v_mad_co_u64_u32 v[11:12], null, s0, v44, 0
	s_delay_alu instid0(VALU_DEP_3)
	v_mad_co_u64_u32 v[13:14], null, s1, v47, v[1:2]
	v_mov_b32_e32 v1, v6
	s_wait_alu 0xfffe
	s_lshl_b64 s[10:11], s[6:7], 4
	v_mov_b32_e32 v6, v9
	v_mad_co_u64_u32 v[26:27], null, s0, v40, 0
	v_lshlrev_b64_e32 v[0:1], 4, v[0:1]
	v_dual_mov_b32 v7, v12 :: v_dual_mov_b32 v22, v25
	v_mov_b32_e32 v5, v13
	s_add_nc_u64 s[10:11], s[4:5], s[10:11]
	v_mad_co_u64_u32 v[16:17], null, s0, v43, 0
	s_delay_alu instid0(VALU_DEP_4)
	v_add_co_u32 v53, vcc_lo, s10, v0
	s_wait_alu 0xfffd
	v_add_co_ci_u32_e32 v54, vcc_lo, s11, v1, vcc_lo
	v_lshlrev_b64_e32 v[0:1], 4, v[4:5]
	v_mad_co_u64_u32 v[4:5], null, s1, v45, v[6:7]
	v_mad_co_u64_u32 v[5:6], null, s1, v44, v[7:8]
	v_dual_mov_b32 v3, v10 :: v_dual_mov_b32 v10, v17
	v_mad_co_u64_u32 v[18:19], null, s0, v42, 0
	v_mad_co_u64_u32 v[51:52], null, s0, v37, 0
	s_delay_alu instid0(VALU_DEP_4) | instskip(NEXT) | instid1(VALU_DEP_4)
	v_mov_b32_e32 v12, v5
	v_lshlrev_b64_e32 v[2:3], 4, v[2:3]
	v_mov_b32_e32 v9, v4
	v_mad_co_u64_u32 v[28:29], null, s0, v39, 0
	s_delay_alu instid0(VALU_DEP_4)
	v_lshlrev_b64_e32 v[11:12], 4, v[11:12]
	v_mov_b32_e32 v13, v19
	v_add_co_u32 v2, vcc_lo, v53, v2
	v_lshlrev_b64_e32 v[8:9], 4, v[8:9]
	s_wait_alu 0xfffd
	v_add_co_ci_u32_e32 v3, vcc_lo, v54, v3, vcc_lo
	v_mad_co_u64_u32 v[14:15], null, s1, v43, v[10:11]
	v_add_co_u32 v6, vcc_lo, v53, v0
	s_wait_alu 0xfffd
	v_add_co_ci_u32_e32 v7, vcc_lo, v54, v1, vcc_lo
	v_add_co_u32 v8, vcc_lo, v53, v8
	s_delay_alu instid0(VALU_DEP_4) | instskip(SKIP_4) | instid1(VALU_DEP_3)
	v_mad_co_u64_u32 v[19:20], null, s1, v42, v[13:14]
	v_mov_b32_e32 v17, v14
	s_wait_alu 0xfffd
	v_add_co_ci_u32_e32 v9, vcc_lo, v54, v9, vcc_lo
	v_add_co_u32 v20, vcc_lo, v53, v11
	v_lshlrev_b64_e32 v[16:17], 4, v[16:17]
	v_lshlrev_b64_e32 v[18:19], 4, v[18:19]
	s_wait_alu 0xfffd
	v_add_co_ci_u32_e32 v21, vcc_lo, v54, v12, vcc_lo
	s_clause 0x3
	global_load_b128 v[0:3], v[2:3], off
	global_load_b128 v[4:7], v[6:7], off
	;; [unrolled: 1-line block ×4, first 2 shown]
	v_add_co_u32 v16, vcc_lo, v53, v16
	v_mad_co_u64_u32 v[20:21], null, s1, v41, v[22:23]
	s_wait_alu 0xfffd
	v_add_co_ci_u32_e32 v17, vcc_lo, v54, v17, vcc_lo
	v_add_co_u32 v21, vcc_lo, v53, v18
	s_wait_alu 0xfffd
	v_add_co_ci_u32_e32 v22, vcc_lo, v54, v19, vcc_lo
	v_dual_mov_b32 v18, v27 :: v_dual_mov_b32 v19, v29
	v_mad_co_u64_u32 v[30:31], null, s0, v38, 0
	v_mov_b32_e32 v25, v20
	s_delay_alu instid0(VALU_DEP_3) | instskip(SKIP_1) | instid1(VALU_DEP_3)
	v_mad_co_u64_u32 v[32:33], null, s1, v40, v[18:19]
	v_mad_co_u64_u32 v[35:36], null, s1, v39, v[19:20]
	v_lshlrev_b64_e32 v[24:25], 4, v[24:25]
	s_clause 0x1
	global_load_b128 v[16:19], v[16:17], off
	global_load_b128 v[20:23], v[21:22], off
	v_mov_b32_e32 v27, v32
	v_mad_co_u64_u32 v[31:32], null, s1, v38, v[31:32]
	v_dual_mov_b32 v32, v52 :: v_dual_mov_b32 v29, v35
	s_delay_alu instid0(VALU_DEP_3) | instskip(SKIP_1) | instid1(VALU_DEP_3)
	v_lshlrev_b64_e32 v[26:27], 4, v[26:27]
	v_add_co_u32 v24, vcc_lo, v53, v24
	v_mad_co_u64_u32 v[32:33], null, s1, v37, v[32:33]
	s_delay_alu instid0(VALU_DEP_4)
	v_lshlrev_b64_e32 v[28:29], 4, v[28:29]
	s_wait_alu 0xfffd
	v_add_co_ci_u32_e32 v25, vcc_lo, v54, v25, vcc_lo
	v_add_co_u32 v35, vcc_lo, v53, v26
	s_wait_alu 0xfffd
	v_add_co_ci_u32_e32 v36, vcc_lo, v54, v27, vcc_lo
	v_mov_b32_e32 v52, v32
	v_lshlrev_b64_e32 v[26:27], 4, v[30:31]
	v_add_co_u32 v32, vcc_lo, v53, v28
	s_wait_alu 0xfffd
	v_add_co_ci_u32_e32 v33, vcc_lo, v54, v29, vcc_lo
	v_lshlrev_b64_e32 v[28:29], 4, v[51:52]
	s_delay_alu instid0(VALU_DEP_4) | instskip(SKIP_2) | instid1(VALU_DEP_3)
	v_add_co_u32 v55, vcc_lo, v53, v26
	s_wait_alu 0xfffd
	v_add_co_ci_u32_e32 v56, vcc_lo, v54, v27, vcc_lo
	v_add_co_u32 v59, vcc_lo, v53, v28
	s_wait_alu 0xfffd
	v_add_co_ci_u32_e32 v60, vcc_lo, v54, v29, vcc_lo
	s_clause 0x4
	global_load_b128 v[24:27], v[24:25], off
	global_load_b128 v[28:31], v[35:36], off
	global_load_b128 v[51:54], v[32:33], off
	global_load_b128 v[55:58], v[55:56], off
	global_load_b128 v[59:62], v[59:60], off
	v_add3_u32 v32, 0, v50, v49
	s_wait_loadcnt 0xa
	ds_store_b128 v32, v[0:3]
	s_wait_loadcnt 0x9
	ds_store_b128 v32, v[4:7] offset:176
	s_wait_loadcnt 0x8
	ds_store_b128 v32, v[8:11] offset:352
	;; [unrolled: 2-line block ×10, first 2 shown]
.LBB0_17:
	s_wait_alu 0xfffe
	s_or_b32 exec_lo, exec_lo, s9
	s_mov_b32 s10, 0x5d161400
	s_movk_i32 s11, 0x54
	s_mov_b32 s9, s8
	s_mov_b32 s21, s8
	s_wait_alu 0xfffe
	s_add_nc_u64 s[10:11], s[8:9], s[10:11]
	global_wb scope:SCOPE_SE
	s_wait_dscnt 0x0
	s_wait_alu 0xfffe
	s_add_co_i32 s11, s11, 0x1745d120
	s_barrier_signal -1
	s_wait_alu 0xfffe
	s_mul_u64 s[16:17], s[10:11], -11
	s_barrier_wait -1
	s_wait_alu 0xfffe
	s_mul_hi_u32 s19, s10, s17
	s_mul_i32 s18, s10, s17
	s_mul_hi_u32 s20, s10, s16
	s_mul_hi_u32 s9, s11, s16
	s_mul_i32 s16, s11, s16
	s_wait_alu 0xfffe
	s_add_nc_u64 s[18:19], s[20:21], s[18:19]
	s_mul_hi_u32 s20, s11, s17
	s_wait_alu 0xfffe
	s_add_co_u32 s16, s18, s16
	s_add_co_ci_u32 s16, s19, s9
	s_add_co_ci_u32 s19, s20, 0
	s_mul_i32 s18, s11, s17
	s_mov_b32 s17, s8
	global_inv scope:SCOPE_SE
	s_wait_alu 0xfffe
	s_add_nc_u64 s[8:9], s[16:17], s[18:19]
	s_mov_b32 s34, 0xf8bb580b
	s_wait_alu 0xfffe
	v_add_co_u32 v2, s8, s10, s8
	s_delay_alu instid0(VALU_DEP_1) | instskip(SKIP_4) | instid1(VALU_DEP_2)
	s_cmp_lg_u32 s8, 0
	v_add_co_u32 v33, s8, s14, v46
	s_add_co_ci_u32 s9, s11, s9
	v_add_co_ci_u32_e64 v4, null, s15, 0, s8
	s_wait_alu 0xfffe
	v_mad_co_u64_u32 v[0:1], null, v33, s9, 0
	v_mul_hi_u32 v5, v33, v2
	s_delay_alu instid0(VALU_DEP_3)
	v_mad_co_u64_u32 v[2:3], null, v4, v2, 0
	s_mov_b32 s30, 0x8eee2c13
	s_mov_b32 s24, 0x43842ef
	;; [unrolled: 1-line block ×5, first 2 shown]
	s_delay_alu instid0(VALU_DEP_2) | instskip(SKIP_3) | instid1(VALU_DEP_3)
	v_add_co_u32 v5, vcc_lo, v5, v0
	s_wait_alu 0xfffd
	v_add_co_ci_u32_e32 v6, vcc_lo, 0, v1, vcc_lo
	v_mad_co_u64_u32 v[0:1], null, v4, s9, 0
	v_add_co_u32 v2, vcc_lo, v5, v2
	s_wait_alu 0xfffd
	s_delay_alu instid0(VALU_DEP_3) | instskip(SKIP_3) | instid1(VALU_DEP_3)
	v_add_co_ci_u32_e32 v2, vcc_lo, v6, v3, vcc_lo
	s_mov_b32 s31, 0xbfed1bb4
	s_mov_b32 s25, 0xbfefac9e
	s_wait_alu 0xfffd
	v_add_co_ci_u32_e32 v1, vcc_lo, 0, v1, vcc_lo
	v_add_co_u32 v0, vcc_lo, v2, v0
	s_mov_b32 s23, 0xbfe82f19
	s_wait_alu 0xfffd
	s_delay_alu instid0(VALU_DEP_2) | instskip(NEXT) | instid1(VALU_DEP_2)
	v_add_co_ci_u32_e32 v2, vcc_lo, 0, v1, vcc_lo
	v_mad_co_u64_u32 v[0:1], null, v0, 11, 0
	s_mov_b32 s21, 0xbfd207e7
	s_mov_b32 s16, 0x8764f0ba
	;; [unrolled: 1-line block ×6, first 2 shown]
	s_delay_alu instid0(VALU_DEP_1)
	v_mad_co_u64_u32 v[1:2], null, v2, 11, v[1:2]
	v_sub_co_u32 v0, vcc_lo, v33, v0
	s_mov_b32 s17, 0x3feaeb8c
	s_mov_b32 s19, 0x3fda9628
	;; [unrolled: 1-line block ×4, first 2 shown]
	s_wait_alu 0xfffd
	s_delay_alu instid0(VALU_DEP_2) | instskip(SKIP_3) | instid1(VALU_DEP_2)
	v_sub_co_ci_u32_e32 v1, vcc_lo, v4, v1, vcc_lo
	v_sub_co_u32 v2, vcc_lo, v0, 11
	s_mov_b32 s9, 0xbfeeb42a
	s_wait_alu 0xfffd
	v_subrev_co_ci_u32_e32 v3, vcc_lo, 0, v1, vcc_lo
	s_delay_alu instid0(VALU_DEP_2)
	v_cmp_lt_u32_e32 vcc_lo, 10, v2
	s_mov_b32 s39, 0x3fed1bb4
	s_mov_b32 s37, 0x3fefac9e
	s_mov_b32 s29, 0x3fe82f19
	s_wait_alu 0xfffe
	s_mov_b32 s38, s30
	s_wait_alu 0xfffd
	v_cndmask_b32_e64 v4, 0, -1, vcc_lo
	v_cmp_lt_u32_e32 vcc_lo, 10, v0
	s_mov_b32 s36, s24
	s_mov_b32 s28, s22
	;; [unrolled: 1-line block ×4, first 2 shown]
	s_wait_alu 0xfffd
	v_cndmask_b32_e64 v5, 0, -1, vcc_lo
	v_cmp_eq_u32_e32 vcc_lo, 0, v3
	s_mov_b32 s40, s34
	s_mov_b32 s26, s20
	s_add_co_i32 s42, 0, 0x5330
	s_wait_alu 0xfffd
	v_dual_cndmask_b32 v3, -1, v4 :: v_dual_add_nc_u32 v4, -11, v2
	v_cmp_eq_u32_e32 vcc_lo, 0, v1
	s_wait_alu 0xfffd
	v_cndmask_b32_e32 v1, -1, v5, vcc_lo
	s_delay_alu instid0(VALU_DEP_3) | instskip(SKIP_2) | instid1(VALU_DEP_3)
	v_cmp_ne_u32_e32 vcc_lo, 0, v3
	s_wait_alu 0xfffd
	v_cndmask_b32_e32 v2, v2, v4, vcc_lo
	v_cmp_ne_u32_e32 vcc_lo, 0, v1
	s_wait_alu 0xfffd
	s_delay_alu instid0(VALU_DEP_2) | instskip(NEXT) | instid1(VALU_DEP_1)
	v_dual_cndmask_b32 v0, v0, v2 :: v_dual_lshlrev_b32 v1, 4, v48
	v_mul_u32_u24_e32 v0, 0x79, v0
	s_delay_alu instid0(VALU_DEP_1) | instskip(NEXT) | instid1(VALU_DEP_1)
	v_lshlrev_b32_e32 v0, 4, v0
	v_add3_u32 v51, 0, v0, v1
	v_add3_u32 v32, 0, v1, v0
	ds_load_b128 v[4:7], v51
	ds_load_b128 v[0:3], v32 offset:176
	ds_load_b128 v[8:11], v32 offset:352
	;; [unrolled: 1-line block ×3, first 2 shown]
	s_wait_dscnt 0x2
	v_add_f64_e32 v[16:17], v[4:5], v[0:1]
	v_add_f64_e32 v[18:19], v[6:7], v[2:3]
	s_wait_dscnt 0x1
	s_delay_alu instid0(VALU_DEP_2) | instskip(NEXT) | instid1(VALU_DEP_2)
	v_add_f64_e32 v[16:17], v[16:17], v[8:9]
	v_add_f64_e32 v[18:19], v[18:19], v[10:11]
	s_wait_dscnt 0x0
	s_delay_alu instid0(VALU_DEP_2) | instskip(NEXT) | instid1(VALU_DEP_2)
	v_add_f64_e32 v[24:25], v[16:17], v[12:13]
	v_add_f64_e32 v[26:27], v[18:19], v[14:15]
	ds_load_b128 v[16:19], v32 offset:704
	ds_load_b128 v[20:23], v32 offset:880
	s_wait_dscnt 0x1
	v_add_f64_e32 v[24:25], v[24:25], v[16:17]
	v_add_f64_e32 v[26:27], v[26:27], v[18:19]
	s_wait_dscnt 0x0
	s_delay_alu instid0(VALU_DEP_2) | instskip(NEXT) | instid1(VALU_DEP_2)
	v_add_f64_e32 v[28:29], v[24:25], v[20:21]
	v_add_f64_e32 v[30:31], v[26:27], v[22:23]
	ds_load_b128 v[24:27], v32 offset:1056
	s_wait_dscnt 0x0
	v_add_f64_e64 v[35:36], v[22:23], -v[26:27]
	v_add_f64_e32 v[64:65], v[22:23], v[26:27]
	v_add_f64_e32 v[66:67], v[20:21], v[24:25]
	v_add_f64_e64 v[68:69], v[20:21], -v[24:25]
	ds_load_b128 v[20:23], v32 offset:1232
	v_add_f64_e32 v[24:25], v[28:29], v[24:25]
	v_add_f64_e32 v[26:27], v[30:31], v[26:27]
	s_wait_dscnt 0x0
	v_add_f64_e64 v[28:29], v[18:19], -v[22:23]
	v_add_f64_e32 v[30:31], v[18:19], v[22:23]
	v_add_f64_e32 v[70:71], v[16:17], v[20:21]
	v_add_f64_e64 v[72:73], v[16:17], -v[20:21]
	ds_load_b128 v[16:19], v32 offset:1408
	v_mul_f64_e32 v[114:115], s[20:21], v[35:36]
	v_mul_f64_e32 v[116:117], s[8:9], v[64:65]
	s_wait_alu 0xfffe
	v_mul_f64_e32 v[130:131], s[40:41], v[35:36]
	v_mul_f64_e32 v[132:133], s[16:17], v[64:65]
	;; [unrolled: 1-line block ×6, first 2 shown]
	s_wait_dscnt 0x0
	v_add_f64_e32 v[74:75], v[12:13], v[16:17]
	v_add_f64_e64 v[76:77], v[12:13], -v[16:17]
	v_add_f64_e32 v[20:21], v[24:25], v[20:21]
	v_add_f64_e32 v[22:23], v[26:27], v[22:23]
	v_add_f64_e64 v[24:25], v[14:15], -v[18:19]
	v_add_f64_e32 v[26:27], v[14:15], v[18:19]
	ds_load_b128 v[12:15], v32 offset:1584
	v_mul_f64_e32 v[110:111], s[22:23], v[28:29]
	v_mul_f64_e32 v[112:113], s[10:11], v[30:31]
	;; [unrolled: 1-line block ×8, first 2 shown]
	s_wait_dscnt 0x0
	v_add_f64_e32 v[78:79], v[8:9], v[12:13]
	v_add_f64_e64 v[80:81], v[8:9], -v[12:13]
	v_add_f64_e32 v[16:17], v[20:21], v[16:17]
	v_add_f64_e32 v[18:19], v[22:23], v[18:19]
	v_add_f64_e64 v[20:21], v[10:11], -v[14:15]
	v_add_f64_e32 v[22:23], v[10:11], v[14:15]
	ds_load_b128 v[8:11], v32 offset:1760
	v_mul_f64_e32 v[106:107], s[24:25], v[24:25]
	v_mul_f64_e32 v[108:109], s[14:15], v[26:27]
	;; [unrolled: 1-line block ×8, first 2 shown]
	global_wb scope:SCOPE_SE
	s_wait_dscnt 0x0
	s_barrier_signal -1
	s_barrier_wait -1
	global_inv scope:SCOPE_SE
	v_add_f64_e32 v[52:53], v[0:1], v[8:9]
	v_add_f64_e64 v[54:55], v[0:1], -v[8:9]
	v_add_f64_e32 v[12:13], v[16:17], v[12:13]
	v_add_f64_e32 v[14:15], v[18:19], v[14:15]
	v_add_f64_e64 v[16:17], v[2:3], -v[10:11]
	v_add_f64_e32 v[18:19], v[2:3], v[10:11]
	v_mul_f64_e32 v[102:103], s[30:31], v[20:21]
	v_mul_f64_e32 v[104:105], s[18:19], v[22:23]
	;; [unrolled: 1-line block ×7, first 2 shown]
	v_add_f64_e32 v[0:1], v[12:13], v[8:9]
	v_add_f64_e32 v[2:3], v[14:15], v[10:11]
	v_mul_f64_e32 v[8:9], s[34:35], v[16:17]
	v_mul_f64_e32 v[10:11], s[30:31], v[16:17]
	;; [unrolled: 1-line block ×8, first 2 shown]
	v_fma_f64 v[56:57], v[52:53], s[16:17], v[8:9]
	v_fma_f64 v[8:9], v[52:53], s[16:17], -v[8:9]
	v_fma_f64 v[58:59], v[52:53], s[18:19], v[10:11]
	v_fma_f64 v[10:11], v[52:53], s[18:19], -v[10:11]
	;; [unrolled: 2-line block ×5, first 2 shown]
	v_mul_f64_e32 v[52:53], s[18:19], v[18:19]
	v_mul_f64_e32 v[18:19], s[16:17], v[18:19]
	v_fma_f64 v[92:93], v[54:55], s[36:37], v[84:85]
	v_fma_f64 v[94:95], v[54:55], s[28:29], v[86:87]
	;; [unrolled: 1-line block ×6, first 2 shown]
	v_add_f64_e32 v[8:9], v[4:5], v[8:9]
	v_add_f64_e32 v[16:17], v[4:5], v[16:17]
	v_fma_f64 v[90:91], v[54:55], s[38:39], v[52:53]
	v_fma_f64 v[98:99], v[54:55], s[34:35], v[18:19]
	;; [unrolled: 1-line block ×4, first 2 shown]
	v_add_f64_e32 v[84:85], v[6:7], v[84:85]
	v_add_f64_e32 v[86:87], v[6:7], v[86:87]
	;; [unrolled: 1-line block ×15, first 2 shown]
	v_fma_f64 v[4:5], v[78:79], s[18:19], -v[102:103]
	v_add_f64_e32 v[82:83], v[6:7], v[96:97]
	v_add_f64_e32 v[96:97], v[6:7], v[52:53]
	v_add_f64_e32 v[100:101], v[6:7], v[18:19]
	v_fma_f64 v[6:7], v[80:81], s[30:31], v[104:105]
	v_fma_f64 v[18:19], v[80:81], s[28:29], v[120:121]
	v_fma_f64 v[52:53], v[74:75], s[8:9], v[122:123]
	v_add_f64_e32 v[4:5], v[4:5], v[8:9]
	v_fma_f64 v[8:9], v[74:75], s[14:15], -v[106:107]
	v_add_f64_e32 v[6:7], v[6:7], v[54:55]
	v_add_f64_e32 v[18:19], v[18:19], v[58:59]
	s_delay_alu instid0(VALU_DEP_3) | instskip(SKIP_1) | instid1(VALU_DEP_1)
	v_add_f64_e32 v[4:5], v[8:9], v[4:5]
	v_fma_f64 v[8:9], v[76:77], s[24:25], v[108:109]
	v_add_f64_e32 v[6:7], v[8:9], v[6:7]
	v_fma_f64 v[8:9], v[70:71], s[10:11], -v[110:111]
	s_delay_alu instid0(VALU_DEP_1) | instskip(SKIP_1) | instid1(VALU_DEP_1)
	v_add_f64_e32 v[4:5], v[8:9], v[4:5]
	v_fma_f64 v[8:9], v[72:73], s[22:23], v[112:113]
	v_add_f64_e32 v[6:7], v[8:9], v[6:7]
	v_fma_f64 v[8:9], v[66:67], s[8:9], -v[114:115]
	s_delay_alu instid0(VALU_DEP_1) | instskip(SKIP_1) | instid1(VALU_DEP_1)
	v_add_f64_e32 v[4:5], v[8:9], v[4:5]
	v_fma_f64 v[8:9], v[68:69], s[20:21], v[116:117]
	v_add_f64_e32 v[6:7], v[8:9], v[6:7]
	v_fma_f64 v[8:9], v[78:79], s[10:11], v[118:119]
	s_delay_alu instid0(VALU_DEP_1) | instskip(NEXT) | instid1(VALU_DEP_1)
	v_add_f64_e32 v[8:9], v[8:9], v[56:57]
	v_add_f64_e32 v[8:9], v[52:53], v[8:9]
	v_fma_f64 v[52:53], v[76:77], s[20:21], v[124:125]
	s_delay_alu instid0(VALU_DEP_1) | instskip(SKIP_1) | instid1(VALU_DEP_1)
	v_add_f64_e32 v[18:19], v[52:53], v[18:19]
	v_fma_f64 v[52:53], v[70:71], s[14:15], v[126:127]
	v_add_f64_e32 v[8:9], v[52:53], v[8:9]
	v_fma_f64 v[52:53], v[72:73], s[24:25], v[128:129]
	s_delay_alu instid0(VALU_DEP_1) | instskip(SKIP_1) | instid1(VALU_DEP_1)
	v_add_f64_e32 v[18:19], v[52:53], v[18:19]
	v_fma_f64 v[52:53], v[66:67], s[16:17], v[130:131]
	v_add_f64_e32 v[52:53], v[52:53], v[8:9]
	v_fma_f64 v[8:9], v[68:69], s[34:35], v[132:133]
	s_delay_alu instid0(VALU_DEP_1) | instskip(SKIP_2) | instid1(VALU_DEP_2)
	v_add_f64_e32 v[54:55], v[8:9], v[18:19]
	v_fma_f64 v[8:9], v[78:79], s[8:9], v[134:135]
	v_fma_f64 v[18:19], v[74:75], s[18:19], v[138:139]
	v_add_f64_e32 v[8:9], v[8:9], v[10:11]
	v_fma_f64 v[10:11], v[80:81], s[20:21], v[136:137]
	s_delay_alu instid0(VALU_DEP_2) | instskip(NEXT) | instid1(VALU_DEP_2)
	v_add_f64_e32 v[8:9], v[18:19], v[8:9]
	v_add_f64_e32 v[10:11], v[10:11], v[60:61]
	v_fma_f64 v[18:19], v[76:77], s[30:31], v[140:141]
	s_delay_alu instid0(VALU_DEP_1) | instskip(SKIP_1) | instid1(VALU_DEP_1)
	v_add_f64_e32 v[10:11], v[18:19], v[10:11]
	v_fma_f64 v[18:19], v[70:71], s[16:17], v[142:143]
	v_add_f64_e32 v[8:9], v[18:19], v[8:9]
	v_fma_f64 v[18:19], v[72:73], s[40:41], v[144:145]
	s_delay_alu instid0(VALU_DEP_1) | instskip(SKIP_1) | instid1(VALU_DEP_1)
	v_add_f64_e32 v[10:11], v[18:19], v[10:11]
	v_fma_f64 v[18:19], v[66:67], s[10:11], v[146:147]
	v_add_f64_e32 v[56:57], v[18:19], v[8:9]
	v_fma_f64 v[8:9], v[68:69], s[28:29], v[148:149]
	v_mul_f64_e32 v[18:19], s[36:37], v[20:21]
	s_delay_alu instid0(VALU_DEP_2) | instskip(NEXT) | instid1(VALU_DEP_2)
	v_add_f64_e32 v[58:59], v[8:9], v[10:11]
	v_fma_f64 v[8:9], v[78:79], s[14:15], v[18:19]
	v_fma_f64 v[10:11], v[80:81], s[24:25], v[150:151]
	s_delay_alu instid0(VALU_DEP_2) | instskip(SKIP_1) | instid1(VALU_DEP_3)
	v_add_f64_e32 v[8:9], v[8:9], v[12:13]
	v_fma_f64 v[12:13], v[74:75], s[16:17], v[152:153]
	v_add_f64_e32 v[10:11], v[10:11], v[62:63]
	s_delay_alu instid0(VALU_DEP_2) | instskip(SKIP_1) | instid1(VALU_DEP_1)
	v_add_f64_e32 v[8:9], v[12:13], v[8:9]
	v_fma_f64 v[12:13], v[76:77], s[40:41], v[154:155]
	v_add_f64_e32 v[10:11], v[12:13], v[10:11]
	v_fma_f64 v[12:13], v[70:71], s[8:9], v[156:157]
	s_delay_alu instid0(VALU_DEP_1) | instskip(SKIP_1) | instid1(VALU_DEP_1)
	v_add_f64_e32 v[8:9], v[12:13], v[8:9]
	v_fma_f64 v[12:13], v[72:73], s[26:27], v[158:159]
	v_add_f64_e32 v[10:11], v[12:13], v[10:11]
	v_fma_f64 v[12:13], v[66:67], s[18:19], v[160:161]
	s_delay_alu instid0(VALU_DEP_1) | instskip(SKIP_3) | instid1(VALU_DEP_3)
	v_add_f64_e32 v[60:61], v[12:13], v[8:9]
	v_fma_f64 v[8:9], v[68:69], s[30:31], v[162:163]
	v_mul_f64_e32 v[12:13], s[40:41], v[20:21]
	v_mul_f64_e32 v[20:21], s[22:23], v[24:25]
	v_add_f64_e32 v[62:63], v[8:9], v[10:11]
	s_delay_alu instid0(VALU_DEP_3) | instskip(SKIP_1) | instid1(VALU_DEP_2)
	v_fma_f64 v[8:9], v[78:79], s[16:17], v[12:13]
	v_fma_f64 v[12:13], v[78:79], s[16:17], -v[12:13]
	v_add_f64_e32 v[8:9], v[8:9], v[14:15]
	v_mul_f64_e32 v[14:15], s[16:17], v[22:23]
	v_fma_f64 v[22:23], v[74:75], s[10:11], v[20:21]
	s_delay_alu instid0(VALU_DEP_4) | instskip(SKIP_1) | instid1(VALU_DEP_4)
	v_add_f64_e32 v[12:13], v[12:13], v[16:17]
	v_fma_f64 v[16:17], v[74:75], s[10:11], -v[20:21]
	v_fma_f64 v[10:11], v[80:81], s[34:35], v[14:15]
	s_delay_alu instid0(VALU_DEP_4) | instskip(SKIP_4) | instid1(VALU_DEP_4)
	v_add_f64_e32 v[8:9], v[22:23], v[8:9]
	v_mul_f64_e32 v[22:23], s[10:11], v[26:27]
	v_fma_f64 v[14:15], v[80:81], s[40:41], v[14:15]
	v_add_f64_e32 v[12:13], v[16:17], v[12:13]
	v_add_f64_e32 v[10:11], v[10:11], v[82:83]
	v_fma_f64 v[24:25], v[76:77], s[28:29], v[22:23]
	s_delay_alu instid0(VALU_DEP_4) | instskip(SKIP_2) | instid1(VALU_DEP_4)
	v_add_f64_e32 v[14:15], v[14:15], v[88:89]
	v_fma_f64 v[16:17], v[76:77], s[22:23], v[22:23]
	v_fma_f64 v[22:23], v[68:69], s[38:39], v[162:163]
	v_add_f64_e32 v[10:11], v[24:25], v[10:11]
	v_mul_f64_e32 v[24:25], s[38:39], v[28:29]
	s_delay_alu instid0(VALU_DEP_4) | instskip(NEXT) | instid1(VALU_DEP_2)
	v_add_f64_e32 v[14:15], v[16:17], v[14:15]
	v_fma_f64 v[26:27], v[70:71], s[18:19], v[24:25]
	v_fma_f64 v[16:17], v[70:71], s[18:19], -v[24:25]
	v_fma_f64 v[24:25], v[74:75], s[18:19], -v[138:139]
	s_delay_alu instid0(VALU_DEP_3) | instskip(SKIP_1) | instid1(VALU_DEP_4)
	v_add_f64_e32 v[8:9], v[26:27], v[8:9]
	v_mul_f64_e32 v[26:27], s[18:19], v[30:31]
	v_add_f64_e32 v[12:13], v[16:17], v[12:13]
	v_mul_f64_e32 v[30:31], s[14:15], v[64:65]
	v_fma_f64 v[64:65], v[76:77], s[36:37], v[108:109]
	s_delay_alu instid0(VALU_DEP_4) | instskip(SKIP_1) | instid1(VALU_DEP_4)
	v_fma_f64 v[28:29], v[72:73], s[30:31], v[26:27]
	v_fma_f64 v[16:17], v[72:73], s[38:39], v[26:27]
	;; [unrolled: 1-line block ×4, first 2 shown]
	s_delay_alu instid0(VALU_DEP_4) | instskip(SKIP_2) | instid1(VALU_DEP_2)
	v_add_f64_e32 v[10:11], v[28:29], v[10:11]
	v_mul_f64_e32 v[28:29], s[24:25], v[35:36]
	v_add_f64_e32 v[14:15], v[16:17], v[14:15]
	v_fma_f64 v[16:17], v[66:67], s[14:15], -v[28:29]
	s_delay_alu instid0(VALU_DEP_2)
	v_add_f64_e32 v[14:15], v[20:21], v[14:15]
	v_fma_f64 v[20:21], v[74:75], s[16:17], -v[152:153]
	v_fma_f64 v[35:36], v[66:67], s[14:15], v[28:29]
	v_fma_f64 v[28:29], v[74:75], s[8:9], -v[122:123]
	v_add_f64_e32 v[12:13], v[16:17], v[12:13]
	v_fma_f64 v[16:17], v[78:79], s[14:15], -v[18:19]
	v_fma_f64 v[18:19], v[80:81], s[36:37], v[150:151]
	v_add_f64_e32 v[8:9], v[35:36], v[8:9]
	v_fma_f64 v[35:36], v[68:69], s[36:37], v[30:31]
	v_fma_f64 v[30:31], v[68:69], s[40:41], v[132:133]
	v_add_f64_e32 v[16:17], v[16:17], v[94:95]
	v_add_f64_e32 v[18:19], v[18:19], v[86:87]
	s_delay_alu instid0(VALU_DEP_4) | instskip(SKIP_1) | instid1(VALU_DEP_4)
	v_add_f64_e32 v[10:11], v[35:36], v[10:11]
	v_fma_f64 v[35:36], v[74:75], s[14:15], v[106:107]
	v_add_f64_e32 v[16:17], v[20:21], v[16:17]
	v_fma_f64 v[20:21], v[76:77], s[34:35], v[154:155]
	s_delay_alu instid0(VALU_DEP_1) | instskip(SKIP_1) | instid1(VALU_DEP_1)
	v_add_f64_e32 v[18:19], v[20:21], v[18:19]
	v_fma_f64 v[20:21], v[70:71], s[8:9], -v[156:157]
	v_add_f64_e32 v[16:17], v[20:21], v[16:17]
	v_fma_f64 v[20:21], v[72:73], s[20:21], v[158:159]
	s_delay_alu instid0(VALU_DEP_1) | instskip(SKIP_1) | instid1(VALU_DEP_2)
	v_add_f64_e32 v[18:19], v[20:21], v[18:19]
	v_fma_f64 v[20:21], v[66:67], s[18:19], -v[160:161]
	v_add_f64_e32 v[18:19], v[22:23], v[18:19]
	s_delay_alu instid0(VALU_DEP_2) | instskip(SKIP_2) | instid1(VALU_DEP_2)
	v_add_f64_e32 v[16:17], v[20:21], v[16:17]
	v_fma_f64 v[20:21], v[78:79], s[8:9], -v[134:135]
	v_fma_f64 v[22:23], v[80:81], s[26:27], v[136:137]
	v_add_f64_e32 v[20:21], v[20:21], v[92:93]
	s_delay_alu instid0(VALU_DEP_2) | instskip(NEXT) | instid1(VALU_DEP_2)
	v_add_f64_e32 v[22:23], v[22:23], v[84:85]
	v_add_f64_e32 v[20:21], v[24:25], v[20:21]
	v_fma_f64 v[24:25], v[76:77], s[38:39], v[140:141]
	s_delay_alu instid0(VALU_DEP_1) | instskip(SKIP_1) | instid1(VALU_DEP_1)
	v_add_f64_e32 v[22:23], v[24:25], v[22:23]
	v_fma_f64 v[24:25], v[70:71], s[16:17], -v[142:143]
	v_add_f64_e32 v[20:21], v[24:25], v[20:21]
	v_fma_f64 v[24:25], v[72:73], s[34:35], v[144:145]
	s_delay_alu instid0(VALU_DEP_1) | instskip(SKIP_1) | instid1(VALU_DEP_2)
	v_add_f64_e32 v[22:23], v[24:25], v[22:23]
	v_fma_f64 v[24:25], v[66:67], s[10:11], -v[146:147]
	v_add_f64_e32 v[22:23], v[26:27], v[22:23]
	s_delay_alu instid0(VALU_DEP_2) | instskip(SKIP_2) | instid1(VALU_DEP_2)
	v_add_f64_e32 v[20:21], v[24:25], v[20:21]
	v_fma_f64 v[24:25], v[78:79], s[10:11], -v[118:119]
	v_fma_f64 v[26:27], v[80:81], s[22:23], v[120:121]
	v_add_f64_e32 v[24:25], v[24:25], v[90:91]
	s_delay_alu instid0(VALU_DEP_2) | instskip(NEXT) | instid1(VALU_DEP_2)
	v_add_f64_e32 v[26:27], v[26:27], v[96:97]
	v_add_f64_e32 v[24:25], v[28:29], v[24:25]
	v_fma_f64 v[28:29], v[76:77], s[26:27], v[124:125]
	s_delay_alu instid0(VALU_DEP_1) | instskip(SKIP_2) | instid1(VALU_DEP_2)
	v_add_f64_e32 v[26:27], v[28:29], v[26:27]
	v_fma_f64 v[28:29], v[70:71], s[14:15], -v[126:127]
	v_fma_f64 v[70:71], v[70:71], s[10:11], v[110:111]
	v_add_f64_e32 v[24:25], v[28:29], v[24:25]
	v_fma_f64 v[28:29], v[72:73], s[36:37], v[128:129]
	v_fma_f64 v[72:73], v[72:73], s[28:29], v[112:113]
	s_delay_alu instid0(VALU_DEP_2) | instskip(SKIP_1) | instid1(VALU_DEP_2)
	v_add_f64_e32 v[26:27], v[28:29], v[26:27]
	v_fma_f64 v[28:29], v[66:67], s[16:17], -v[130:131]
	v_add_f64_e32 v[26:27], v[30:31], v[26:27]
	s_delay_alu instid0(VALU_DEP_2) | instskip(SKIP_2) | instid1(VALU_DEP_2)
	v_add_f64_e32 v[24:25], v[28:29], v[24:25]
	v_fma_f64 v[28:29], v[78:79], s[18:19], v[102:103]
	v_fma_f64 v[30:31], v[80:81], s[38:39], v[104:105]
	v_add_f64_e32 v[28:29], v[28:29], v[98:99]
	s_delay_alu instid0(VALU_DEP_2) | instskip(NEXT) | instid1(VALU_DEP_2)
	v_add_f64_e32 v[30:31], v[30:31], v[100:101]
	v_add_f64_e32 v[28:29], v[35:36], v[28:29]
	s_delay_alu instid0(VALU_DEP_2) | instskip(SKIP_2) | instid1(VALU_DEP_4)
	v_add_f64_e32 v[30:31], v[64:65], v[30:31]
	v_fma_f64 v[35:36], v[66:67], s[8:9], v[114:115]
	v_fma_f64 v[64:65], v[68:69], s[26:27], v[116:117]
	v_add_f64_e32 v[28:29], v[70:71], v[28:29]
	s_delay_alu instid0(VALU_DEP_4) | instskip(NEXT) | instid1(VALU_DEP_2)
	v_add_f64_e32 v[30:31], v[72:73], v[30:31]
	v_add_f64_e32 v[28:29], v[35:36], v[28:29]
	s_delay_alu instid0(VALU_DEP_2)
	v_add_f64_e32 v[30:31], v[64:65], v[30:31]
	v_mad_co_u64_u32 v[35:36], null, 0xa0, v48, v[32:33]
	v_mul_lo_u32 v36, v48, v33
	ds_store_b128 v35, v[52:55] offset:32
	ds_store_b128 v35, v[56:59] offset:48
	;; [unrolled: 1-line block ×4, first 2 shown]
	v_lshrrev_b32_e32 v52, 2, v36
	v_and_b32_e32 v8, 63, v36
	v_mul_lo_u32 v33, v33, 11
	ds_store_b128 v35, v[12:15] offset:96
	ds_store_b128 v35, v[16:19] offset:112
	;; [unrolled: 1-line block ×6, first 2 shown]
	ds_store_b128 v35, v[0:3]
	v_and_b32_e32 v9, 0x3f0, v52
	v_lshl_add_u32 v8, v8, 4, 0
	global_wb scope:SCOPE_SE
	s_wait_dscnt 0x0
	s_barrier_signal -1
	s_barrier_wait -1
	v_add_nc_u32_e32 v9, s42, v9
	global_inv scope:SCOPE_SE
	ds_load_b128 v[0:3], v8 offset:21296
	ds_load_b128 v[4:7], v9 offset:1024
	v_add_nc_u32_e32 v18, v36, v33
	v_lshrrev_b32_e32 v20, 8, v36
	s_delay_alu instid0(VALU_DEP_2)
	v_lshrrev_b32_e32 v8, 2, v18
	v_and_b32_e32 v9, 63, v18
	v_add_nc_u32_e32 v52, v18, v33
	v_lshrrev_b32_e32 v19, 8, v18
	v_and_b32_e32 v20, 0x3f0, v20
	v_and_b32_e32 v8, 0x3f0, v8
	v_lshl_add_u32 v9, v9, 4, 0
	s_delay_alu instid0(VALU_DEP_4) | instskip(NEXT) | instid1(VALU_DEP_4)
	v_and_b32_e32 v19, 0x3f0, v19
	v_add_nc_u32_e32 v22, s42, v20
	s_delay_alu instid0(VALU_DEP_4) | instskip(NEXT) | instid1(VALU_DEP_3)
	v_add_nc_u32_e32 v10, s42, v8
	v_add_nc_u32_e32 v19, s42, v19
	s_wait_dscnt 0x0
	v_mul_f64_e32 v[14:15], v[2:3], v[6:7]
	v_mul_f64_e32 v[16:17], v[0:1], v[6:7]
	ds_load_b128 v[6:9], v9 offset:21296
	ds_load_b128 v[10:13], v10 offset:1024
	;; [unrolled: 1-line block ×4, first 2 shown]
	s_wait_dscnt 0x2
	v_mul_f64_e32 v[28:29], v[6:7], v[12:13]
	v_mul_f64_e32 v[26:27], v[8:9], v[12:13]
	v_lshrrev_b32_e32 v12, 2, v52
	v_and_b32_e32 v13, 63, v52
	s_delay_alu instid0(VALU_DEP_2) | instskip(NEXT) | instid1(VALU_DEP_2)
	v_and_b32_e32 v12, 0x3f0, v12
	v_lshl_add_u32 v13, v13, 4, 0
	s_delay_alu instid0(VALU_DEP_2)
	v_add_nc_u32_e32 v12, s42, v12
	v_fma_f64 v[30:31], v[0:1], v[4:5], -v[14:15]
	v_fma_f64 v[16:17], v[2:3], v[4:5], v[16:17]
	ds_load_b128 v[0:3], v13 offset:21296
	ds_load_b128 v[12:15], v12 offset:1024
	s_wait_dscnt 0x0
	v_mul_f64_e32 v[35:36], v[2:3], v[14:15]
	v_fma_f64 v[98:99], v[8:9], v[10:11], v[28:29]
	v_mul_f64_e32 v[8:9], v[0:1], v[14:15]
	v_fma_f64 v[96:97], v[6:7], v[10:11], -v[26:27]
	v_add_nc_u32_e32 v10, v52, v33
	s_delay_alu instid0(VALU_DEP_1) | instskip(SKIP_1) | instid1(VALU_DEP_2)
	v_lshrrev_b32_e32 v4, 2, v10
	v_and_b32_e32 v5, 63, v10
	v_and_b32_e32 v4, 0x3f0, v4
	s_delay_alu instid0(VALU_DEP_2) | instskip(NEXT) | instid1(VALU_DEP_2)
	v_lshl_add_u32 v5, v5, 4, 0
	v_add_nc_u32_e32 v11, s42, v4
	ds_load_b128 v[4:7], v5 offset:21296
	v_fma_f64 v[100:101], v[0:1], v[12:13], -v[35:36]
	v_fma_f64 v[102:103], v[2:3], v[12:13], v[8:9]
	ds_load_b128 v[0:3], v11 offset:1024
	v_lshrrev_b32_e32 v8, 8, v10
	v_lshrrev_b32_e32 v9, 8, v52
	v_add_nc_u32_e32 v10, v10, v33
	s_delay_alu instid0(VALU_DEP_3) | instskip(NEXT) | instid1(VALU_DEP_3)
	v_and_b32_e32 v8, 0x3f0, v8
	v_and_b32_e32 v9, 0x3f0, v9
	s_delay_alu instid0(VALU_DEP_2) | instskip(NEXT) | instid1(VALU_DEP_2)
	v_add_nc_u32_e32 v8, s42, v8
	v_add_nc_u32_e32 v9, s42, v9
	ds_load_b128 v[26:29], v8 offset:2048
	ds_load_b128 v[52:55], v9 offset:2048
	s_wait_dscnt 0x2
	v_mul_f64_e32 v[8:9], v[6:7], v[2:3]
	v_mul_f64_e32 v[2:3], v[4:5], v[2:3]
	s_delay_alu instid0(VALU_DEP_2) | instskip(NEXT) | instid1(VALU_DEP_2)
	v_fma_f64 v[104:105], v[4:5], v[0:1], -v[8:9]
	v_fma_f64 v[106:107], v[6:7], v[0:1], v[2:3]
	v_lshrrev_b32_e32 v0, 2, v10
	v_and_b32_e32 v1, 63, v10
	s_delay_alu instid0(VALU_DEP_2) | instskip(NEXT) | instid1(VALU_DEP_2)
	v_and_b32_e32 v0, 0x3f0, v0
	v_lshl_add_u32 v1, v1, 4, 0
	s_delay_alu instid0(VALU_DEP_2) | instskip(SKIP_4) | instid1(VALU_DEP_1)
	v_add_nc_u32_e32 v4, s42, v0
	ds_load_b128 v[0:3], v1 offset:21296
	ds_load_b128 v[4:7], v4 offset:1024
	s_wait_dscnt 0x0
	v_mul_f64_e32 v[8:9], v[2:3], v[6:7]
	v_fma_f64 v[108:109], v[0:1], v[4:5], -v[8:9]
	v_mul_f64_e32 v[0:1], v[0:1], v[6:7]
	s_delay_alu instid0(VALU_DEP_1) | instskip(SKIP_2) | instid1(VALU_DEP_2)
	v_fma_f64 v[110:111], v[2:3], v[4:5], v[0:1]
	v_lshrrev_b32_e32 v0, 8, v10
	v_add_nc_u32_e32 v10, v10, v33
	v_and_b32_e32 v0, 0x3f0, v0
	s_delay_alu instid0(VALU_DEP_2)
	v_lshrrev_b32_e32 v1, 2, v10
	v_lshrrev_b32_e32 v2, 8, v10
	v_and_b32_e32 v3, 63, v10
	v_add_nc_u32_e32 v10, v10, v33
	v_add_nc_u32_e32 v8, s42, v0
	v_and_b32_e32 v1, 0x3f0, v1
	v_and_b32_e32 v2, 0x3f0, v2
	v_lshl_add_u32 v3, v3, 4, 0
	s_delay_alu instid0(VALU_DEP_3) | instskip(NEXT) | instid1(VALU_DEP_3)
	v_add_nc_u32_e32 v4, s42, v1
	v_add_nc_u32_e32 v9, s42, v2
	ds_load_b128 v[0:3], v3 offset:21296
	ds_load_b128 v[4:7], v4 offset:1024
	;; [unrolled: 1-line block ×4, first 2 shown]
	s_wait_dscnt 0x2
	v_mul_f64_e32 v[8:9], v[2:3], v[6:7]
	s_delay_alu instid0(VALU_DEP_1) | instskip(SKIP_1) | instid1(VALU_DEP_1)
	v_fma_f64 v[112:113], v[0:1], v[4:5], -v[8:9]
	v_mul_f64_e32 v[0:1], v[0:1], v[6:7]
	v_fma_f64 v[114:115], v[2:3], v[4:5], v[0:1]
	v_lshrrev_b32_e32 v0, 2, v10
	v_and_b32_e32 v1, 63, v10
	s_delay_alu instid0(VALU_DEP_2) | instskip(NEXT) | instid1(VALU_DEP_2)
	v_and_b32_e32 v0, 0x3f0, v0
	v_lshl_add_u32 v1, v1, 4, 0
	s_delay_alu instid0(VALU_DEP_2) | instskip(SKIP_4) | instid1(VALU_DEP_1)
	v_add_nc_u32_e32 v4, s42, v0
	ds_load_b128 v[0:3], v1 offset:21296
	ds_load_b128 v[4:7], v4 offset:1024
	s_wait_dscnt 0x0
	v_mul_f64_e32 v[8:9], v[2:3], v[6:7]
	v_fma_f64 v[116:117], v[0:1], v[4:5], -v[8:9]
	v_mul_f64_e32 v[0:1], v[0:1], v[6:7]
	s_delay_alu instid0(VALU_DEP_1) | instskip(SKIP_2) | instid1(VALU_DEP_2)
	v_fma_f64 v[118:119], v[2:3], v[4:5], v[0:1]
	v_lshrrev_b32_e32 v0, 8, v10
	v_add_nc_u32_e32 v10, v10, v33
	v_and_b32_e32 v0, 0x3f0, v0
	s_delay_alu instid0(VALU_DEP_2)
	v_lshrrev_b32_e32 v1, 2, v10
	v_lshrrev_b32_e32 v2, 8, v10
	v_and_b32_e32 v3, 63, v10
	v_add_nc_u32_e32 v10, v10, v33
	v_add_nc_u32_e32 v8, s42, v0
	v_and_b32_e32 v1, 0x3f0, v1
	v_and_b32_e32 v2, 0x3f0, v2
	v_lshl_add_u32 v3, v3, 4, 0
	v_add_nc_u32_e32 v11, v10, v33
	s_delay_alu instid0(VALU_DEP_4) | instskip(NEXT) | instid1(VALU_DEP_4)
	v_add_nc_u32_e32 v4, s42, v1
	v_add_nc_u32_e32 v9, s42, v2
	ds_load_b128 v[0:3], v3 offset:21296
	ds_load_b128 v[4:7], v4 offset:1024
	;; [unrolled: 1-line block ×4, first 2 shown]
	s_wait_dscnt 0x2
	v_mul_f64_e32 v[8:9], v[2:3], v[6:7]
	s_delay_alu instid0(VALU_DEP_1) | instskip(SKIP_1) | instid1(VALU_DEP_1)
	v_fma_f64 v[120:121], v[0:1], v[4:5], -v[8:9]
	v_mul_f64_e32 v[0:1], v[0:1], v[6:7]
	v_fma_f64 v[122:123], v[2:3], v[4:5], v[0:1]
	v_lshrrev_b32_e32 v0, 2, v10
	v_and_b32_e32 v1, 63, v10
	s_delay_alu instid0(VALU_DEP_2) | instskip(NEXT) | instid1(VALU_DEP_2)
	v_and_b32_e32 v0, 0x3f0, v0
	v_lshl_add_u32 v1, v1, 4, 0
	s_delay_alu instid0(VALU_DEP_2) | instskip(SKIP_4) | instid1(VALU_DEP_1)
	v_add_nc_u32_e32 v4, s42, v0
	ds_load_b128 v[0:3], v1 offset:21296
	ds_load_b128 v[4:7], v4 offset:1024
	s_wait_dscnt 0x0
	v_mul_f64_e32 v[8:9], v[2:3], v[6:7]
	v_fma_f64 v[124:125], v[0:1], v[4:5], -v[8:9]
	v_mul_f64_e32 v[0:1], v[0:1], v[6:7]
	s_delay_alu instid0(VALU_DEP_1)
	v_fma_f64 v[126:127], v[2:3], v[4:5], v[0:1]
	v_lshrrev_b32_e32 v1, 2, v11
	v_lshrrev_b32_e32 v2, 8, v11
	;; [unrolled: 1-line block ×3, first 2 shown]
	v_and_b32_e32 v3, 63, v11
	v_add_nc_u32_e32 v10, v11, v33
	v_and_b32_e32 v1, 0x3f0, v1
	v_and_b32_e32 v2, 0x3f0, v2
	;; [unrolled: 1-line block ×3, first 2 shown]
	v_lshl_add_u32 v3, v3, 4, 0
	v_mul_lo_u32 v33, v48, 10
	v_add_nc_u32_e32 v4, s42, v1
	v_add_nc_u32_e32 v9, s42, v2
	;; [unrolled: 1-line block ×3, first 2 shown]
	ds_load_b128 v[0:3], v3 offset:21296
	ds_load_b128 v[4:7], v4 offset:1024
	;; [unrolled: 1-line block ×4, first 2 shown]
	s_wait_dscnt 0x2
	v_mul_f64_e32 v[8:9], v[2:3], v[6:7]
	s_delay_alu instid0(VALU_DEP_1) | instskip(SKIP_1) | instid1(VALU_DEP_1)
	v_fma_f64 v[128:129], v[0:1], v[4:5], -v[8:9]
	v_mul_f64_e32 v[0:1], v[0:1], v[6:7]
	v_fma_f64 v[130:131], v[2:3], v[4:5], v[0:1]
	v_lshrrev_b32_e32 v0, 2, v10
	v_and_b32_e32 v1, 63, v10
	s_delay_alu instid0(VALU_DEP_2) | instskip(NEXT) | instid1(VALU_DEP_2)
	v_and_b32_e32 v0, 0x3f0, v0
	v_lshl_add_u32 v1, v1, 4, 0
	s_delay_alu instid0(VALU_DEP_2) | instskip(SKIP_4) | instid1(VALU_DEP_1)
	v_add_nc_u32_e32 v4, s42, v0
	ds_load_b128 v[0:3], v1 offset:21296
	ds_load_b128 v[4:7], v4 offset:1024
	s_wait_dscnt 0x0
	v_mul_f64_e32 v[8:9], v[2:3], v[6:7]
	v_fma_f64 v[132:133], v[0:1], v[4:5], -v[8:9]
	v_mul_f64_e32 v[0:1], v[0:1], v[6:7]
	s_delay_alu instid0(VALU_DEP_1) | instskip(SKIP_1) | instid1(VALU_DEP_1)
	v_fma_f64 v[134:135], v[2:3], v[4:5], v[0:1]
	v_lshlrev_b64_e32 v[0:1], 4, v[33:34]
	v_add_co_u32 v136, vcc_lo, s12, v0
	v_lshrrev_b32_e32 v0, 8, v10
	s_wait_alu 0xfffd
	s_delay_alu instid0(VALU_DEP_3) | instskip(NEXT) | instid1(VALU_DEP_2)
	v_add_co_ci_u32_e32 v137, vcc_lo, s13, v1, vcc_lo
	v_and_b32_e32 v0, 0x3f0, v0
	s_delay_alu instid0(VALU_DEP_1)
	v_add_nc_u32_e32 v0, s42, v0
	ds_load_b128 v[33:36], v0 offset:2048
	s_clause 0x1
	global_load_b128 v[0:3], v[136:137], off
	global_load_b128 v[8:11], v[136:137], off offset:16
	ds_load_b128 v[12:15], v32 offset:176
	s_wait_loadcnt_dscnt 0x100
	v_mul_f64_e32 v[4:5], v[12:13], v[2:3]
	v_mul_f64_e32 v[2:3], v[14:15], v[2:3]
	s_delay_alu instid0(VALU_DEP_2) | instskip(NEXT) | instid1(VALU_DEP_2)
	v_fma_f64 v[4:5], v[14:15], v[0:1], -v[4:5]
	v_fma_f64 v[6:7], v[12:13], v[0:1], v[2:3]
	ds_load_b128 v[0:3], v32 offset:352
	ds_load_b128 v[80:83], v32 offset:528
	s_wait_loadcnt_dscnt 0x1
	v_mul_f64_e32 v[12:13], v[0:1], v[10:11]
	s_delay_alu instid0(VALU_DEP_1) | instskip(SKIP_1) | instid1(VALU_DEP_1)
	v_fma_f64 v[12:13], v[2:3], v[8:9], -v[12:13]
	v_mul_f64_e32 v[2:3], v[2:3], v[10:11]
	v_fma_f64 v[14:15], v[0:1], v[8:9], v[2:3]
	global_load_b128 v[8:11], v[136:137], off offset:128
	ds_load_b128 v[84:87], v32 offset:1584
	ds_load_b128 v[88:91], v32 offset:1408
	;; [unrolled: 1-line block ×3, first 2 shown]
	s_wait_loadcnt_dscnt 0x2
	v_mul_f64_e32 v[0:1], v[84:85], v[10:11]
	v_mul_f64_e32 v[2:3], v[86:87], v[10:11]
	s_delay_alu instid0(VALU_DEP_2) | instskip(NEXT) | instid1(VALU_DEP_2)
	v_fma_f64 v[0:1], v[86:87], v[8:9], -v[0:1]
	v_fma_f64 v[2:3], v[84:85], v[8:9], v[2:3]
	global_load_b128 v[84:87], v[136:137], off offset:144
	s_wait_loadcnt_dscnt 0x0
	v_mul_f64_e32 v[8:9], v[92:93], v[86:87]
	v_mul_f64_e32 v[10:11], v[94:95], v[86:87]
	s_delay_alu instid0(VALU_DEP_2) | instskip(NEXT) | instid1(VALU_DEP_2)
	v_fma_f64 v[8:9], v[94:95], v[84:85], -v[8:9]
	v_fma_f64 v[10:11], v[92:93], v[84:85], v[10:11]
	s_clause 0x1
	global_load_b128 v[84:87], v[136:137], off offset:32
	global_load_b128 v[92:95], v[136:137], off offset:48
	s_wait_loadcnt 0x1
	v_mul_f64_e32 v[138:139], v[80:81], v[86:87]
	s_delay_alu instid0(VALU_DEP_1) | instskip(SKIP_1) | instid1(VALU_DEP_1)
	v_fma_f64 v[138:139], v[82:83], v[84:85], -v[138:139]
	v_mul_f64_e32 v[82:83], v[82:83], v[86:87]
	v_fma_f64 v[140:141], v[80:81], v[84:85], v[82:83]
	s_clause 0x1
	global_load_b128 v[80:83], v[136:137], off offset:112
	global_load_b128 v[84:87], v[136:137], off offset:96
	s_wait_loadcnt 0x1
	v_mul_f64_e32 v[142:143], v[88:89], v[82:83]
	v_mul_f64_e32 v[82:83], v[90:91], v[82:83]
	s_delay_alu instid0(VALU_DEP_2) | instskip(NEXT) | instid1(VALU_DEP_2)
	v_fma_f64 v[142:143], v[90:91], v[80:81], -v[142:143]
	v_fma_f64 v[144:145], v[88:89], v[80:81], v[82:83]
	ds_load_b128 v[80:83], v32 offset:704
	ds_load_b128 v[88:91], v32 offset:880
	s_wait_dscnt 0x1
	v_mul_f64_e32 v[146:147], v[82:83], v[94:95]
	s_delay_alu instid0(VALU_DEP_1) | instskip(SKIP_1) | instid1(VALU_DEP_1)
	v_fma_f64 v[146:147], v[80:81], v[92:93], v[146:147]
	v_mul_f64_e32 v[80:81], v[80:81], v[94:95]
	v_fma_f64 v[148:149], v[82:83], v[92:93], -v[80:81]
	s_clause 0x1
	global_load_b128 v[80:83], v[136:137], off offset:64
	global_load_b128 v[92:95], v[136:137], off offset:80
	s_wait_loadcnt_dscnt 0x100
	v_mul_f64_e32 v[136:137], v[90:91], v[82:83]
	v_mul_f64_e32 v[82:83], v[88:89], v[82:83]
	s_delay_alu instid0(VALU_DEP_2) | instskip(NEXT) | instid1(VALU_DEP_2)
	v_fma_f64 v[136:137], v[88:89], v[80:81], v[136:137]
	v_fma_f64 v[150:151], v[90:91], v[80:81], -v[82:83]
	ds_load_b128 v[80:83], v32 offset:1056
	ds_load_b128 v[88:91], v32 offset:1232
	s_wait_loadcnt_dscnt 0x1
	v_mul_f64_e32 v[152:153], v[82:83], v[94:95]
	s_delay_alu instid0(VALU_DEP_1) | instskip(SKIP_1) | instid1(VALU_DEP_2)
	v_fma_f64 v[152:153], v[80:81], v[92:93], v[152:153]
	v_mul_f64_e32 v[80:81], v[80:81], v[94:95]
	v_add_f64_e64 v[158:159], v[136:137], -v[152:153]
	s_delay_alu instid0(VALU_DEP_2) | instskip(SKIP_4) | instid1(VALU_DEP_3)
	v_fma_f64 v[80:81], v[82:83], v[92:93], -v[80:81]
	s_wait_dscnt 0x0
	v_mul_f64_e32 v[82:83], v[90:91], v[86:87]
	v_mul_f64_e32 v[86:87], v[88:89], v[86:87]
	v_add_f64_e32 v[164:165], v[136:137], v[152:153]
	v_fma_f64 v[82:83], v[88:89], v[84:85], v[82:83]
	s_delay_alu instid0(VALU_DEP_3) | instskip(SKIP_1) | instid1(VALU_DEP_1)
	v_fma_f64 v[84:85], v[90:91], v[84:85], -v[86:87]
	v_mul_f64_e32 v[86:87], v[30:31], v[24:25]
	v_fma_f64 v[86:87], v[22:23], v[16:17], v[86:87]
	v_mul_f64_e32 v[16:17], v[16:17], v[24:25]
	s_delay_alu instid0(VALU_DEP_1) | instskip(SKIP_1) | instid1(VALU_DEP_1)
	v_fma_f64 v[88:89], v[22:23], v[30:31], -v[16:17]
	v_mul_f64_e32 v[16:17], v[96:97], v[20:21]
	v_fma_f64 v[90:91], v[18:19], v[98:99], v[16:17]
	v_mul_f64_e32 v[16:17], v[98:99], v[20:21]
	v_add_f64_e32 v[98:99], v[14:15], v[2:3]
	s_delay_alu instid0(VALU_DEP_2) | instskip(SKIP_2) | instid1(VALU_DEP_2)
	v_fma_f64 v[92:93], v[18:19], v[96:97], -v[16:17]
	v_mul_f64_e32 v[16:17], v[100:101], v[54:55]
	v_add_f64_e64 v[96:97], v[12:13], -v[0:1]
	v_fma_f64 v[20:21], v[52:53], v[102:103], v[16:17]
	v_mul_f64_e32 v[16:17], v[102:103], v[54:55]
	v_add_f64_e32 v[102:103], v[4:5], v[8:9]
	s_delay_alu instid0(VALU_DEP_2) | instskip(SKIP_2) | instid1(VALU_DEP_4)
	v_fma_f64 v[22:23], v[52:53], v[100:101], -v[16:17]
	v_mul_f64_e32 v[16:17], v[104:105], v[28:29]
	v_mul_f64_e32 v[100:101], s[22:23], v[96:97]
	;; [unrolled: 1-line block ×5, first 2 shown]
	v_fma_f64 v[24:25], v[26:27], v[106:107], v[16:17]
	v_mul_f64_e32 v[16:17], v[106:107], v[28:29]
	v_mul_f64_e32 v[106:107], s[18:19], v[102:103]
	s_delay_alu instid0(VALU_DEP_2) | instskip(SKIP_2) | instid1(VALU_DEP_2)
	v_fma_f64 v[26:27], v[26:27], v[104:105], -v[16:17]
	v_mul_f64_e32 v[16:17], v[108:109], v[62:63]
	v_add_f64_e64 v[104:105], v[6:7], -v[10:11]
	v_fma_f64 v[28:29], v[60:61], v[110:111], v[16:17]
	v_mul_f64_e32 v[16:17], v[110:111], v[62:63]
	v_add_f64_e64 v[110:111], v[14:15], -v[2:3]
	s_delay_alu instid0(VALU_DEP_2) | instskip(SKIP_2) | instid1(VALU_DEP_2)
	v_fma_f64 v[30:31], v[60:61], v[108:109], -v[16:17]
	v_mul_f64_e32 v[16:17], v[112:113], v[58:59]
	v_add_f64_e32 v[108:109], v[12:13], v[0:1]
	v_fma_f64 v[52:53], v[56:57], v[114:115], v[16:17]
	v_mul_f64_e32 v[16:17], v[114:115], v[58:59]
	s_delay_alu instid0(VALU_DEP_3) | instskip(SKIP_2) | instid1(VALU_DEP_4)
	v_mul_f64_e32 v[174:175], s[8:9], v[108:109]
	v_mul_f64_e32 v[194:195], s[14:15], v[108:109]
	;; [unrolled: 1-line block ×3, first 2 shown]
	v_fma_f64 v[54:55], v[56:57], v[112:113], -v[16:17]
	v_mul_f64_e32 v[16:17], v[116:117], v[70:71]
	v_mul_f64_e32 v[112:113], s[10:11], v[108:109]
	v_fma_f64 v[176:177], v[110:111], s[20:21], v[174:175]
	v_fma_f64 v[196:197], v[110:111], s[24:25], v[194:195]
	;; [unrolled: 1-line block ×4, first 2 shown]
	v_mul_f64_e32 v[16:17], v[118:119], v[70:71]
	v_fma_f64 v[114:115], v[110:111], s[28:29], v[112:113]
	s_delay_alu instid0(VALU_DEP_2) | instskip(SKIP_2) | instid1(VALU_DEP_2)
	v_fma_f64 v[58:59], v[68:69], v[116:117], -v[16:17]
	v_mul_f64_e32 v[16:17], v[120:121], v[66:67]
	v_add_f64_e32 v[116:117], v[140:141], v[144:145]
	v_fma_f64 v[60:61], v[64:65], v[122:123], v[16:17]
	v_mul_f64_e32 v[16:17], v[122:123], v[66:67]
	v_add_f64_e64 v[122:123], v[140:141], -v[144:145]
	s_delay_alu instid0(VALU_DEP_2) | instskip(SKIP_1) | instid1(VALU_DEP_1)
	v_fma_f64 v[62:63], v[64:65], v[120:121], -v[16:17]
	v_mul_f64_e32 v[16:17], v[124:125], v[78:79]
	v_fma_f64 v[64:65], v[76:77], v[126:127], v[16:17]
	v_mul_f64_e32 v[16:17], v[126:127], v[78:79]
	v_add_f64_e32 v[78:79], v[6:7], v[10:11]
	s_delay_alu instid0(VALU_DEP_2) | instskip(SKIP_2) | instid1(VALU_DEP_2)
	v_fma_f64 v[66:67], v[76:77], v[124:125], -v[16:17]
	v_mul_f64_e32 v[16:17], v[128:129], v[74:75]
	v_add_f64_e64 v[76:77], v[4:5], -v[8:9]
	v_fma_f64 v[68:69], v[72:73], v[130:131], v[16:17]
	v_mul_f64_e32 v[16:17], v[130:131], v[74:75]
	s_delay_alu instid0(VALU_DEP_3) | instskip(NEXT) | instid1(VALU_DEP_2)
	v_mul_f64_e32 v[94:95], s[30:31], v[76:77]
	v_fma_f64 v[70:71], v[72:73], v[128:129], -v[16:17]
	v_mul_f64_e32 v[16:17], v[132:133], v[35:36]
	v_add_f64_e32 v[128:129], v[146:147], v[82:83]
	s_delay_alu instid0(VALU_DEP_2) | instskip(SKIP_3) | instid1(VALU_DEP_3)
	v_fma_f64 v[72:73], v[33:34], v[134:135], v[16:17]
	v_mul_f64_e32 v[16:17], v[134:135], v[35:36]
	v_fma_f64 v[35:36], v[98:99], s[10:11], v[100:101]
	v_add_f64_e64 v[134:135], v[146:147], -v[82:83]
	v_fma_f64 v[74:75], v[33:34], v[132:133], -v[16:17]
	v_fma_f64 v[33:34], v[78:79], s[18:19], v[94:95]
	ds_load_b128 v[16:19], v51
	global_wb scope:SCOPE_SE
	s_wait_dscnt 0x0
	s_barrier_signal -1
	s_barrier_wait -1
	global_inv scope:SCOPE_SE
	v_add_f64_e32 v[4:5], v[18:19], v[4:5]
	v_add_f64_e32 v[6:7], v[16:17], v[6:7]
	;; [unrolled: 1-line block ×3, first 2 shown]
	s_delay_alu instid0(VALU_DEP_3) | instskip(NEXT) | instid1(VALU_DEP_3)
	v_add_f64_e32 v[4:5], v[4:5], v[12:13]
	v_add_f64_e32 v[6:7], v[6:7], v[14:15]
	s_delay_alu instid0(VALU_DEP_3) | instskip(SKIP_1) | instid1(VALU_DEP_4)
	v_add_f64_e32 v[33:34], v[35:36], v[33:34]
	v_fma_f64 v[35:36], v[104:105], s[38:39], v[106:107]
	v_add_f64_e32 v[4:5], v[4:5], v[138:139]
	s_delay_alu instid0(VALU_DEP_4) | instskip(NEXT) | instid1(VALU_DEP_3)
	v_add_f64_e32 v[6:7], v[6:7], v[140:141]
	v_add_f64_e32 v[35:36], v[18:19], v[35:36]
	s_delay_alu instid0(VALU_DEP_3) | instskip(NEXT) | instid1(VALU_DEP_3)
	v_add_f64_e32 v[4:5], v[4:5], v[148:149]
	v_add_f64_e32 v[6:7], v[6:7], v[146:147]
	s_delay_alu instid0(VALU_DEP_3) | instskip(SKIP_1) | instid1(VALU_DEP_4)
	v_add_f64_e32 v[35:36], v[114:115], v[35:36]
	v_add_f64_e64 v[114:115], v[138:139], -v[142:143]
	v_add_f64_e32 v[4:5], v[4:5], v[150:151]
	s_delay_alu instid0(VALU_DEP_4) | instskip(NEXT) | instid1(VALU_DEP_3)
	v_add_f64_e32 v[6:7], v[6:7], v[136:137]
	v_mul_f64_e32 v[118:119], s[26:27], v[114:115]
	s_delay_alu instid0(VALU_DEP_3) | instskip(NEXT) | instid1(VALU_DEP_3)
	v_add_f64_e32 v[4:5], v[4:5], v[80:81]
	v_add_f64_e32 v[6:7], v[6:7], v[152:153]
	s_delay_alu instid0(VALU_DEP_3) | instskip(NEXT) | instid1(VALU_DEP_3)
	v_fma_f64 v[120:121], v[116:117], s[8:9], v[118:119]
	v_add_f64_e32 v[4:5], v[4:5], v[84:85]
	s_delay_alu instid0(VALU_DEP_3) | instskip(NEXT) | instid1(VALU_DEP_3)
	v_add_f64_e32 v[6:7], v[6:7], v[82:83]
	v_add_f64_e32 v[33:34], v[120:121], v[33:34]
	;; [unrolled: 1-line block ×3, first 2 shown]
	s_delay_alu instid0(VALU_DEP_4) | instskip(NEXT) | instid1(VALU_DEP_4)
	v_add_f64_e32 v[4:5], v[4:5], v[142:143]
	v_add_f64_e32 v[6:7], v[6:7], v[144:145]
	s_delay_alu instid0(VALU_DEP_3) | instskip(NEXT) | instid1(VALU_DEP_3)
	v_mul_f64_e32 v[124:125], s[8:9], v[120:121]
	v_add_f64_e32 v[0:1], v[4:5], v[0:1]
	s_delay_alu instid0(VALU_DEP_3) | instskip(NEXT) | instid1(VALU_DEP_3)
	v_add_f64_e32 v[2:3], v[6:7], v[2:3]
	v_fma_f64 v[126:127], v[122:123], s[20:21], v[124:125]
	s_delay_alu instid0(VALU_DEP_3) | instskip(NEXT) | instid1(VALU_DEP_3)
	v_add_f64_e32 v[4:5], v[0:1], v[8:9]
	v_add_f64_e32 v[0:1], v[2:3], v[10:11]
	s_delay_alu instid0(VALU_DEP_3) | instskip(SKIP_1) | instid1(VALU_DEP_4)
	v_add_f64_e32 v[35:36], v[126:127], v[35:36]
	v_add_f64_e64 v[126:127], v[148:149], -v[84:85]
	v_mul_f64_e32 v[2:3], v[4:5], v[86:87]
	s_delay_alu instid0(VALU_DEP_4) | instskip(NEXT) | instid1(VALU_DEP_3)
	v_mul_f64_e32 v[6:7], v[0:1], v[86:87]
	v_mul_f64_e32 v[130:131], s[36:37], v[126:127]
	s_delay_alu instid0(VALU_DEP_3) | instskip(NEXT) | instid1(VALU_DEP_3)
	v_fma_f64 v[0:1], v[0:1], v[88:89], v[2:3]
	v_fma_f64 v[2:3], v[4:5], v[88:89], -v[6:7]
	s_delay_alu instid0(VALU_DEP_3) | instskip(NEXT) | instid1(VALU_DEP_1)
	v_fma_f64 v[132:133], v[128:129], s[14:15], v[130:131]
	v_add_f64_e32 v[33:34], v[132:133], v[33:34]
	v_add_f64_e32 v[132:133], v[148:149], v[84:85]
	s_delay_alu instid0(VALU_DEP_1) | instskip(NEXT) | instid1(VALU_DEP_1)
	v_mul_f64_e32 v[154:155], s[14:15], v[132:133]
	v_fma_f64 v[156:157], v[134:135], s[24:25], v[154:155]
	s_delay_alu instid0(VALU_DEP_1) | instskip(SKIP_1) | instid1(VALU_DEP_1)
	v_add_f64_e32 v[35:36], v[156:157], v[35:36]
	v_add_f64_e32 v[156:157], v[150:151], v[80:81]
	v_mul_f64_e32 v[160:161], s[16:17], v[156:157]
	s_delay_alu instid0(VALU_DEP_1) | instskip(NEXT) | instid1(VALU_DEP_1)
	v_fma_f64 v[162:163], v[158:159], s[34:35], v[160:161]
	v_add_f64_e32 v[35:36], v[162:163], v[35:36]
	v_add_f64_e64 v[162:163], v[150:151], -v[80:81]
	s_delay_alu instid0(VALU_DEP_1) | instskip(NEXT) | instid1(VALU_DEP_1)
	v_mul_f64_e32 v[166:167], s[40:41], v[162:163]
	v_fma_f64 v[168:169], v[164:165], s[16:17], v[166:167]
	s_delay_alu instid0(VALU_DEP_1) | instskip(SKIP_1) | instid1(VALU_DEP_2)
	v_add_f64_e32 v[33:34], v[168:169], v[33:34]
	v_mul_f64_e32 v[168:169], v[35:36], v[20:21]
	v_mul_f64_e32 v[170:171], v[33:34], v[20:21]
	s_delay_alu instid0(VALU_DEP_2) | instskip(SKIP_1) | instid1(VALU_DEP_3)
	v_fma_f64 v[20:21], v[33:34], v[22:23], v[168:169]
	v_mul_f64_e32 v[168:169], s[24:25], v[76:77]
	v_fma_f64 v[22:23], v[35:36], v[22:23], -v[170:171]
	v_mul_f64_e32 v[170:171], s[26:27], v[96:97]
	s_delay_alu instid0(VALU_DEP_3) | instskip(NEXT) | instid1(VALU_DEP_2)
	v_fma_f64 v[33:34], v[78:79], s[14:15], v[168:169]
	v_fma_f64 v[35:36], v[98:99], s[8:9], v[170:171]
	s_delay_alu instid0(VALU_DEP_2) | instskip(NEXT) | instid1(VALU_DEP_1)
	v_add_f64_e32 v[33:34], v[16:17], v[33:34]
	v_add_f64_e32 v[33:34], v[35:36], v[33:34]
	v_fma_f64 v[35:36], v[104:105], s[36:37], v[172:173]
	s_delay_alu instid0(VALU_DEP_1) | instskip(NEXT) | instid1(VALU_DEP_1)
	v_add_f64_e32 v[35:36], v[18:19], v[35:36]
	v_add_f64_e32 v[35:36], v[176:177], v[35:36]
	v_mul_f64_e32 v[176:177], s[38:39], v[114:115]
	s_delay_alu instid0(VALU_DEP_1) | instskip(NEXT) | instid1(VALU_DEP_1)
	v_fma_f64 v[178:179], v[116:117], s[18:19], v[176:177]
	v_add_f64_e32 v[33:34], v[178:179], v[33:34]
	v_mul_f64_e32 v[178:179], s[18:19], v[120:121]
	s_delay_alu instid0(VALU_DEP_1) | instskip(NEXT) | instid1(VALU_DEP_1)
	v_fma_f64 v[180:181], v[122:123], s[30:31], v[178:179]
	v_add_f64_e32 v[35:36], v[180:181], v[35:36]
	v_mul_f64_e32 v[180:181], s[34:35], v[126:127]
	s_delay_alu instid0(VALU_DEP_1) | instskip(NEXT) | instid1(VALU_DEP_1)
	v_fma_f64 v[182:183], v[128:129], s[16:17], v[180:181]
	v_add_f64_e32 v[33:34], v[182:183], v[33:34]
	v_mul_f64_e32 v[182:183], s[16:17], v[132:133]
	s_delay_alu instid0(VALU_DEP_1) | instskip(NEXT) | instid1(VALU_DEP_1)
	v_fma_f64 v[184:185], v[134:135], s[40:41], v[182:183]
	v_add_f64_e32 v[35:36], v[184:185], v[35:36]
	v_mul_f64_e32 v[184:185], s[10:11], v[156:157]
	s_delay_alu instid0(VALU_DEP_1) | instskip(NEXT) | instid1(VALU_DEP_1)
	v_fma_f64 v[186:187], v[158:159], s[28:29], v[184:185]
	v_add_f64_e32 v[35:36], v[186:187], v[35:36]
	v_mul_f64_e32 v[186:187], s[22:23], v[162:163]
	s_delay_alu instid0(VALU_DEP_1) | instskip(NEXT) | instid1(VALU_DEP_1)
	v_fma_f64 v[188:189], v[164:165], s[10:11], v[186:187]
	v_add_f64_e32 v[33:34], v[188:189], v[33:34]
	s_delay_alu instid0(VALU_DEP_4) | instskip(NEXT) | instid1(VALU_DEP_2)
	v_mul_f64_e32 v[188:189], v[35:36], v[24:25]
	v_mul_f64_e32 v[190:191], v[33:34], v[24:25]
	s_delay_alu instid0(VALU_DEP_2) | instskip(SKIP_1) | instid1(VALU_DEP_3)
	v_fma_f64 v[24:25], v[33:34], v[26:27], v[188:189]
	v_mul_f64_e32 v[188:189], s[22:23], v[76:77]
	v_fma_f64 v[26:27], v[35:36], v[26:27], -v[190:191]
	v_mul_f64_e32 v[190:191], s[36:37], v[96:97]
	s_delay_alu instid0(VALU_DEP_3) | instskip(NEXT) | instid1(VALU_DEP_2)
	v_fma_f64 v[33:34], v[78:79], s[10:11], v[188:189]
	v_fma_f64 v[35:36], v[98:99], s[14:15], v[190:191]
	s_delay_alu instid0(VALU_DEP_2) | instskip(NEXT) | instid1(VALU_DEP_1)
	v_add_f64_e32 v[33:34], v[16:17], v[33:34]
	v_add_f64_e32 v[33:34], v[35:36], v[33:34]
	v_fma_f64 v[35:36], v[104:105], s[28:29], v[192:193]
	s_delay_alu instid0(VALU_DEP_1) | instskip(NEXT) | instid1(VALU_DEP_1)
	v_add_f64_e32 v[35:36], v[18:19], v[35:36]
	v_add_f64_e32 v[35:36], v[196:197], v[35:36]
	v_mul_f64_e32 v[196:197], s[34:35], v[114:115]
	s_delay_alu instid0(VALU_DEP_1) | instskip(NEXT) | instid1(VALU_DEP_1)
	v_fma_f64 v[198:199], v[116:117], s[16:17], v[196:197]
	v_add_f64_e32 v[33:34], v[198:199], v[33:34]
	v_mul_f64_e32 v[198:199], s[16:17], v[120:121]
	s_delay_alu instid0(VALU_DEP_1) | instskip(NEXT) | instid1(VALU_DEP_1)
	v_fma_f64 v[200:201], v[122:123], s[40:41], v[198:199]
	;; [unrolled: 4-line block ×6, first 2 shown]
	v_add_f64_e32 v[33:34], v[208:209], v[33:34]
	s_delay_alu instid0(VALU_DEP_4) | instskip(NEXT) | instid1(VALU_DEP_2)
	v_mul_f64_e32 v[208:209], v[35:36], v[28:29]
	v_mul_f64_e32 v[210:211], v[33:34], v[28:29]
	s_delay_alu instid0(VALU_DEP_2) | instskip(SKIP_2) | instid1(VALU_DEP_4)
	v_fma_f64 v[28:29], v[33:34], v[30:31], v[208:209]
	v_mul_f64_e32 v[208:209], s[20:21], v[76:77]
	v_mul_f64_e32 v[76:77], s[34:35], v[76:77]
	v_fma_f64 v[30:31], v[35:36], v[30:31], -v[210:211]
	v_mul_f64_e32 v[210:211], s[40:41], v[96:97]
	s_delay_alu instid0(VALU_DEP_4) | instskip(NEXT) | instid1(VALU_DEP_2)
	v_fma_f64 v[33:34], v[78:79], s[8:9], v[208:209]
	v_fma_f64 v[35:36], v[98:99], s[16:17], v[210:211]
	s_delay_alu instid0(VALU_DEP_2) | instskip(NEXT) | instid1(VALU_DEP_1)
	v_add_f64_e32 v[33:34], v[16:17], v[33:34]
	v_add_f64_e32 v[33:34], v[35:36], v[33:34]
	v_fma_f64 v[35:36], v[104:105], s[26:27], v[212:213]
	s_delay_alu instid0(VALU_DEP_1) | instskip(NEXT) | instid1(VALU_DEP_1)
	v_add_f64_e32 v[35:36], v[18:19], v[35:36]
	v_add_f64_e32 v[35:36], v[216:217], v[35:36]
	v_mul_f64_e32 v[216:217], s[22:23], v[114:115]
	s_delay_alu instid0(VALU_DEP_1) | instskip(NEXT) | instid1(VALU_DEP_1)
	v_fma_f64 v[218:219], v[116:117], s[10:11], v[216:217]
	v_add_f64_e32 v[33:34], v[218:219], v[33:34]
	v_mul_f64_e32 v[218:219], s[10:11], v[120:121]
	s_delay_alu instid0(VALU_DEP_1) | instskip(NEXT) | instid1(VALU_DEP_1)
	v_fma_f64 v[220:221], v[122:123], s[28:29], v[218:219]
	;; [unrolled: 4-line block ×6, first 2 shown]
	v_add_f64_e32 v[33:34], v[228:229], v[33:34]
	s_delay_alu instid0(VALU_DEP_4) | instskip(NEXT) | instid1(VALU_DEP_2)
	v_mul_f64_e32 v[228:229], v[35:36], v[52:53]
	v_mul_f64_e32 v[51:52], v[33:34], v[52:53]
	s_delay_alu instid0(VALU_DEP_2) | instskip(NEXT) | instid1(VALU_DEP_2)
	v_fma_f64 v[33:34], v[33:34], v[54:55], v[228:229]
	v_fma_f64 v[35:36], v[35:36], v[54:55], -v[51:52]
	v_fma_f64 v[51:52], v[78:79], s[8:9], -v[208:209]
	v_fma_f64 v[53:54], v[98:99], s[16:17], -v[210:211]
	v_fma_f64 v[208:209], v[110:111], s[40:41], v[214:215]
	s_delay_alu instid0(VALU_DEP_3) | instskip(NEXT) | instid1(VALU_DEP_1)
	v_add_f64_e32 v[51:52], v[16:17], v[51:52]
	v_add_f64_e32 v[51:52], v[53:54], v[51:52]
	v_fma_f64 v[53:54], v[104:105], s[20:21], v[212:213]
	s_delay_alu instid0(VALU_DEP_1) | instskip(NEXT) | instid1(VALU_DEP_1)
	v_add_f64_e32 v[53:54], v[18:19], v[53:54]
	v_add_f64_e32 v[53:54], v[208:209], v[53:54]
	v_fma_f64 v[208:209], v[116:117], s[10:11], -v[216:217]
	s_delay_alu instid0(VALU_DEP_1) | instskip(SKIP_1) | instid1(VALU_DEP_1)
	v_add_f64_e32 v[51:52], v[208:209], v[51:52]
	v_fma_f64 v[208:209], v[122:123], s[22:23], v[218:219]
	v_add_f64_e32 v[53:54], v[208:209], v[53:54]
	v_fma_f64 v[208:209], v[128:129], s[18:19], -v[220:221]
	s_delay_alu instid0(VALU_DEP_1) | instskip(SKIP_1) | instid1(VALU_DEP_1)
	v_add_f64_e32 v[51:52], v[208:209], v[51:52]
	v_fma_f64 v[208:209], v[134:135], s[38:39], v[222:223]
	v_add_f64_e32 v[53:54], v[208:209], v[53:54]
	v_fma_f64 v[208:209], v[158:159], s[24:25], v[224:225]
	s_delay_alu instid0(VALU_DEP_1) | instskip(SKIP_1) | instid1(VALU_DEP_1)
	v_add_f64_e32 v[53:54], v[208:209], v[53:54]
	v_fma_f64 v[208:209], v[164:165], s[14:15], -v[226:227]
	v_add_f64_e32 v[51:52], v[208:209], v[51:52]
	s_delay_alu instid0(VALU_DEP_3) | instskip(NEXT) | instid1(VALU_DEP_2)
	v_mul_f64_e32 v[208:209], v[53:54], v[56:57]
	v_mul_f64_e32 v[55:56], v[51:52], v[56:57]
	s_delay_alu instid0(VALU_DEP_2) | instskip(NEXT) | instid1(VALU_DEP_2)
	v_fma_f64 v[51:52], v[51:52], v[58:59], v[208:209]
	v_fma_f64 v[53:54], v[53:54], v[58:59], -v[55:56]
	v_fma_f64 v[55:56], v[78:79], s[10:11], -v[188:189]
	v_fma_f64 v[57:58], v[98:99], s[14:15], -v[190:191]
	v_fma_f64 v[188:189], v[110:111], s[36:37], v[194:195]
	s_delay_alu instid0(VALU_DEP_3) | instskip(NEXT) | instid1(VALU_DEP_1)
	v_add_f64_e32 v[55:56], v[16:17], v[55:56]
	v_add_f64_e32 v[55:56], v[57:58], v[55:56]
	v_fma_f64 v[57:58], v[104:105], s[22:23], v[192:193]
	s_delay_alu instid0(VALU_DEP_1) | instskip(NEXT) | instid1(VALU_DEP_1)
	v_add_f64_e32 v[57:58], v[18:19], v[57:58]
	v_add_f64_e32 v[57:58], v[188:189], v[57:58]
	v_fma_f64 v[188:189], v[116:117], s[16:17], -v[196:197]
	s_delay_alu instid0(VALU_DEP_1) | instskip(SKIP_1) | instid1(VALU_DEP_1)
	v_add_f64_e32 v[55:56], v[188:189], v[55:56]
	v_fma_f64 v[188:189], v[122:123], s[34:35], v[198:199]
	v_add_f64_e32 v[57:58], v[188:189], v[57:58]
	v_fma_f64 v[188:189], v[128:129], s[8:9], -v[200:201]
	s_delay_alu instid0(VALU_DEP_1) | instskip(SKIP_1) | instid1(VALU_DEP_1)
	v_add_f64_e32 v[55:56], v[188:189], v[55:56]
	v_fma_f64 v[188:189], v[134:135], s[20:21], v[202:203]
	v_add_f64_e32 v[57:58], v[188:189], v[57:58]
	v_fma_f64 v[188:189], v[158:159], s[38:39], v[204:205]
	s_delay_alu instid0(VALU_DEP_1) | instskip(SKIP_1) | instid1(VALU_DEP_1)
	v_add_f64_e32 v[57:58], v[188:189], v[57:58]
	v_fma_f64 v[188:189], v[164:165], s[18:19], -v[206:207]
	v_add_f64_e32 v[55:56], v[188:189], v[55:56]
	s_delay_alu instid0(VALU_DEP_3) | instskip(NEXT) | instid1(VALU_DEP_2)
	;; [unrolled: 31-line block ×3, first 2 shown]
	v_mul_f64_e32 v[168:169], v[61:62], v[64:65]
	v_mul_f64_e32 v[63:64], v[59:60], v[64:65]
	s_delay_alu instid0(VALU_DEP_2) | instskip(NEXT) | instid1(VALU_DEP_2)
	v_fma_f64 v[59:60], v[59:60], v[66:67], v[168:169]
	v_fma_f64 v[61:62], v[61:62], v[66:67], -v[63:64]
	v_fma_f64 v[63:64], v[78:79], s[18:19], -v[94:95]
	;; [unrolled: 1-line block ×3, first 2 shown]
	v_fma_f64 v[94:95], v[110:111], s[22:23], v[112:113]
	v_mul_f64_e32 v[100:101], s[18:19], v[108:109]
	s_delay_alu instid0(VALU_DEP_4) | instskip(NEXT) | instid1(VALU_DEP_1)
	v_add_f64_e32 v[63:64], v[16:17], v[63:64]
	v_add_f64_e32 v[63:64], v[65:66], v[63:64]
	v_fma_f64 v[65:66], v[104:105], s[30:31], v[106:107]
	s_delay_alu instid0(VALU_DEP_1) | instskip(NEXT) | instid1(VALU_DEP_1)
	v_add_f64_e32 v[65:66], v[18:19], v[65:66]
	v_add_f64_e32 v[65:66], v[94:95], v[65:66]
	v_fma_f64 v[94:95], v[116:117], s[8:9], -v[118:119]
	s_delay_alu instid0(VALU_DEP_1) | instskip(SKIP_1) | instid1(VALU_DEP_1)
	v_add_f64_e32 v[63:64], v[94:95], v[63:64]
	v_fma_f64 v[94:95], v[122:123], s[26:27], v[124:125]
	v_add_f64_e32 v[65:66], v[94:95], v[65:66]
	v_fma_f64 v[94:95], v[128:129], s[14:15], -v[130:131]
	s_delay_alu instid0(VALU_DEP_1) | instskip(SKIP_1) | instid1(VALU_DEP_1)
	v_add_f64_e32 v[63:64], v[94:95], v[63:64]
	v_fma_f64 v[94:95], v[134:135], s[36:37], v[154:155]
	v_add_f64_e32 v[65:66], v[94:95], v[65:66]
	v_fma_f64 v[94:95], v[158:159], s[40:41], v[160:161]
	s_delay_alu instid0(VALU_DEP_1) | instskip(SKIP_1) | instid1(VALU_DEP_1)
	v_add_f64_e32 v[65:66], v[94:95], v[65:66]
	v_fma_f64 v[94:95], v[164:165], s[16:17], -v[166:167]
	v_add_f64_e32 v[63:64], v[94:95], v[63:64]
	s_delay_alu instid0(VALU_DEP_3) | instskip(NEXT) | instid1(VALU_DEP_2)
	v_mul_f64_e32 v[94:95], v[65:66], v[68:69]
	v_mul_f64_e32 v[67:68], v[63:64], v[68:69]
	s_delay_alu instid0(VALU_DEP_2)
	v_fma_f64 v[63:64], v[63:64], v[70:71], v[94:95]
	v_mul_f64_e32 v[94:95], s[30:31], v[96:97]
	v_mul_f64_e32 v[96:97], s[16:17], v[102:103]
	v_fma_f64 v[102:103], v[110:111], s[30:31], v[100:101]
	v_fma_f64 v[65:66], v[65:66], v[70:71], -v[67:68]
	v_fma_f64 v[67:68], v[78:79], s[16:17], -v[76:77]
	;; [unrolled: 1-line block ×3, first 2 shown]
	s_delay_alu instid0(VALU_DEP_2) | instskip(NEXT) | instid1(VALU_DEP_1)
	v_add_f64_e32 v[67:68], v[16:17], v[67:68]
	v_add_f64_e32 v[67:68], v[69:70], v[67:68]
	v_fma_f64 v[69:70], v[104:105], s[34:35], v[96:97]
	s_delay_alu instid0(VALU_DEP_1) | instskip(NEXT) | instid1(VALU_DEP_1)
	v_add_f64_e32 v[69:70], v[18:19], v[69:70]
	v_add_f64_e32 v[69:70], v[102:103], v[69:70]
	v_mul_f64_e32 v[102:103], s[24:25], v[114:115]
	s_delay_alu instid0(VALU_DEP_1) | instskip(NEXT) | instid1(VALU_DEP_1)
	v_fma_f64 v[106:107], v[116:117], s[14:15], -v[102:103]
	v_add_f64_e32 v[67:68], v[106:107], v[67:68]
	v_mul_f64_e32 v[106:107], s[14:15], v[120:121]
	s_delay_alu instid0(VALU_DEP_1) | instskip(NEXT) | instid1(VALU_DEP_1)
	v_fma_f64 v[108:109], v[122:123], s[24:25], v[106:107]
	v_add_f64_e32 v[69:70], v[108:109], v[69:70]
	v_mul_f64_e32 v[108:109], s[22:23], v[126:127]
	s_delay_alu instid0(VALU_DEP_1) | instskip(NEXT) | instid1(VALU_DEP_1)
	v_fma_f64 v[112:113], v[128:129], s[10:11], -v[108:109]
	v_add_f64_e32 v[67:68], v[112:113], v[67:68]
	v_mul_f64_e32 v[112:113], s[10:11], v[132:133]
	s_delay_alu instid0(VALU_DEP_1) | instskip(NEXT) | instid1(VALU_DEP_1)
	v_fma_f64 v[114:115], v[134:135], s[22:23], v[112:113]
	v_add_f64_e32 v[69:70], v[114:115], v[69:70]
	v_mul_f64_e32 v[114:115], s[8:9], v[156:157]
	s_delay_alu instid0(VALU_DEP_1) | instskip(NEXT) | instid1(VALU_DEP_1)
	v_fma_f64 v[118:119], v[158:159], s[20:21], v[114:115]
	v_add_f64_e32 v[69:70], v[118:119], v[69:70]
	v_mul_f64_e32 v[118:119], s[20:21], v[162:163]
	s_delay_alu instid0(VALU_DEP_1) | instskip(NEXT) | instid1(VALU_DEP_1)
	v_fma_f64 v[120:121], v[164:165], s[8:9], -v[118:119]
	v_add_f64_e32 v[67:68], v[120:121], v[67:68]
	s_delay_alu instid0(VALU_DEP_4) | instskip(NEXT) | instid1(VALU_DEP_2)
	v_mul_f64_e32 v[120:121], v[69:70], v[72:73]
	v_mul_f64_e32 v[71:72], v[67:68], v[72:73]
	s_delay_alu instid0(VALU_DEP_2) | instskip(NEXT) | instid1(VALU_DEP_2)
	v_fma_f64 v[67:68], v[67:68], v[74:75], v[120:121]
	v_fma_f64 v[69:70], v[69:70], v[74:75], -v[71:72]
	v_fma_f64 v[71:72], v[104:105], s[40:41], v[96:97]
	v_fma_f64 v[73:74], v[78:79], s[16:17], v[76:77]
	v_fma_f64 v[75:76], v[98:99], s[18:19], v[94:95]
	v_fma_f64 v[77:78], v[110:111], s[38:39], v[100:101]
	v_fma_f64 v[94:95], v[116:117], s[14:15], v[102:103]
	v_fma_f64 v[96:97], v[122:123], s[36:37], v[106:107]
	v_add_f64_e32 v[71:72], v[18:19], v[71:72]
	v_add_f64_e32 v[73:74], v[16:17], v[73:74]
	s_delay_alu instid0(VALU_DEP_2) | instskip(NEXT) | instid1(VALU_DEP_2)
	v_add_f64_e32 v[71:72], v[77:78], v[71:72]
	v_add_f64_e32 v[73:74], v[75:76], v[73:74]
	v_fma_f64 v[75:76], v[128:129], s[10:11], v[108:109]
	v_fma_f64 v[77:78], v[134:135], s[28:29], v[112:113]
	s_delay_alu instid0(VALU_DEP_4) | instskip(NEXT) | instid1(VALU_DEP_4)
	v_add_f64_e32 v[71:72], v[96:97], v[71:72]
	v_add_f64_e32 v[73:74], v[94:95], v[73:74]
	v_fma_f64 v[94:95], v[158:159], s[26:27], v[114:115]
	v_fma_f64 v[96:97], v[164:165], s[8:9], v[118:119]
	s_delay_alu instid0(VALU_DEP_4) | instskip(NEXT) | instid1(VALU_DEP_4)
	v_add_f64_e32 v[71:72], v[77:78], v[71:72]
	v_add_f64_e32 v[73:74], v[75:76], v[73:74]
	s_delay_alu instid0(VALU_DEP_2) | instskip(NEXT) | instid1(VALU_DEP_2)
	v_add_f64_e32 v[75:76], v[94:95], v[71:72]
	v_add_f64_e32 v[71:72], v[96:97], v[73:74]
	s_delay_alu instid0(VALU_DEP_2) | instskip(NEXT) | instid1(VALU_DEP_2)
	v_mul_f64_e32 v[73:74], v[75:76], v[90:91]
	v_mul_f64_e32 v[77:78], v[71:72], v[90:91]
	s_delay_alu instid0(VALU_DEP_2) | instskip(NEXT) | instid1(VALU_DEP_2)
	v_fma_f64 v[71:72], v[71:72], v[92:93], v[73:74]
	v_fma_f64 v[73:74], v[75:76], v[92:93], -v[77:78]
	ds_store_b128 v32, v[20:23] offset:352
	ds_store_b128 v32, v[24:27] offset:528
	;; [unrolled: 1-line block ×10, first 2 shown]
	ds_store_b128 v32, v[0:3]
	global_wb scope:SCOPE_SE
	s_wait_dscnt 0x0
	s_barrier_signal -1
	s_barrier_wait -1
	global_inv scope:SCOPE_SE
	s_and_saveexec_b32 s8, s33
	s_cbranch_execz .LBB0_19
; %bb.18:
	v_mad_co_u64_u32 v[8:9], null, s0, v46, 0
	v_mad_co_u64_u32 v[0:1], null, s2, v48, 0
	;; [unrolled: 1-line block ×4, first 2 shown]
	s_delay_alu instid0(VALU_DEP_4) | instskip(SKIP_2) | instid1(VALU_DEP_2)
	v_mov_b32_e32 v2, v9
	s_lshl_b64 s[6:7], s[6:7], 4
	v_add3_u32 v32, 0, v50, v49
	v_mad_co_u64_u32 v[3:4], null, s3, v48, v[1:2]
	v_mov_b32_e32 v1, v11
	s_wait_alu 0xfffe
	s_add_nc_u64 s[2:3], s[4:5], s[6:7]
	s_delay_alu instid0(VALU_DEP_1) | instskip(SKIP_1) | instid1(VALU_DEP_4)
	v_mad_co_u64_u32 v[14:15], null, s1, v47, v[1:2]
	v_mad_co_u64_u32 v[15:16], null, s0, v44, 0
	v_mov_b32_e32 v1, v3
	v_mad_co_u64_u32 v[4:5], null, s1, v46, v[2:3]
	s_delay_alu instid0(VALU_DEP_4) | instskip(SKIP_3) | instid1(VALU_DEP_2)
	v_mov_b32_e32 v11, v14
	v_mad_co_u64_u32 v[13:14], null, s1, v45, v[13:14]
	v_mov_b32_e32 v14, v16
	v_lshlrev_b64_e32 v[17:18], 4, v[0:1]
	v_mad_co_u64_u32 v[19:20], null, s1, v44, v[14:15]
	s_wait_alu 0xfffe
	s_delay_alu instid0(VALU_DEP_2) | instskip(SKIP_1) | instid1(VALU_DEP_3)
	v_add_co_u32 v33, vcc_lo, s2, v17
	s_wait_alu 0xfffd
	v_add_co_ci_u32_e32 v34, vcc_lo, s3, v18, vcc_lo
	v_mad_co_u64_u32 v[17:18], null, s0, v43, 0
	s_delay_alu instid0(VALU_DEP_4)
	v_dual_mov_b32 v16, v19 :: v_dual_mov_b32 v9, v4
	ds_load_b128 v[0:3], v32
	ds_load_b128 v[4:7], v32 offset:176
	v_lshlrev_b64_e32 v[10:11], 4, v[10:11]
	v_mad_co_u64_u32 v[20:21], null, s0, v42, 0
	v_lshlrev_b64_e32 v[8:9], 4, v[8:9]
	s_delay_alu instid0(VALU_DEP_1) | instskip(SKIP_1) | instid1(VALU_DEP_2)
	v_add_co_u32 v8, vcc_lo, v33, v8
	s_wait_alu 0xfffd
	v_add_co_ci_u32_e32 v9, vcc_lo, v34, v9, vcc_lo
	v_add_co_u32 v10, vcc_lo, v33, v10
	s_wait_alu 0xfffd
	v_add_co_ci_u32_e32 v11, vcc_lo, v34, v11, vcc_lo
	s_wait_dscnt 0x1
	global_store_b128 v[8:9], v[0:3], off
	s_wait_dscnt 0x0
	global_store_b128 v[10:11], v[4:7], off
	v_mov_b32_e32 v2, v18
	v_lshlrev_b64_e32 v[10:11], 4, v[15:16]
	v_lshlrev_b64_e32 v[0:1], 4, v[12:13]
	s_delay_alu instid0(VALU_DEP_3) | instskip(SKIP_1) | instid1(VALU_DEP_3)
	v_mad_co_u64_u32 v[8:9], null, s1, v43, v[2:3]
	v_mov_b32_e32 v9, v21
	v_add_co_u32 v22, vcc_lo, v33, v0
	s_wait_alu 0xfffd
	s_delay_alu instid0(VALU_DEP_4)
	v_add_co_ci_u32_e32 v23, vcc_lo, v34, v1, vcc_lo
	ds_load_b128 v[0:3], v32 offset:352
	ds_load_b128 v[4:7], v32 offset:528
	v_mov_b32_e32 v18, v8
	v_mad_co_u64_u32 v[24:25], null, s1, v42, v[9:10]
	v_mad_co_u64_u32 v[25:26], null, s0, v41, 0
	s_delay_alu instid0(VALU_DEP_3) | instskip(SKIP_3) | instid1(VALU_DEP_4)
	v_lshlrev_b64_e32 v[16:17], 4, v[17:18]
	v_add_co_u32 v27, vcc_lo, v33, v10
	s_wait_alu 0xfffd
	v_add_co_ci_u32_e32 v28, vcc_lo, v34, v11, vcc_lo
	v_dual_mov_b32 v21, v24 :: v_dual_mov_b32 v18, v26
	ds_load_b128 v[8:11], v32 offset:704
	ds_load_b128 v[12:15], v32 offset:880
	v_add_co_u32 v16, vcc_lo, v33, v16
	v_lshlrev_b64_e32 v[19:20], 4, v[20:21]
	s_wait_alu 0xfffd
	v_add_co_ci_u32_e32 v17, vcc_lo, v34, v17, vcc_lo
	s_wait_dscnt 0x3
	global_store_b128 v[22:23], v[0:3], off
	v_mad_co_u64_u32 v[29:30], null, s1, v41, v[18:19]
	v_mad_co_u64_u32 v[30:31], null, s0, v40, 0
	v_add_co_u32 v18, vcc_lo, v33, v19
	s_wait_alu 0xfffd
	v_add_co_ci_u32_e32 v19, vcc_lo, v34, v20, vcc_lo
	s_delay_alu instid0(VALU_DEP_4)
	v_mov_b32_e32 v26, v29
	s_wait_dscnt 0x2
	global_store_b128 v[27:28], v[4:7], off
	s_wait_dscnt 0x1
	global_store_b128 v[16:17], v[8:11], off
	s_wait_dscnt 0x0
	global_store_b128 v[18:19], v[12:15], off
	v_mad_co_u64_u32 v[8:9], null, s0, v39, 0
	v_lshlrev_b64_e32 v[1:2], 4, v[25:26]
	v_mad_co_u64_u32 v[24:25], null, s0, v37, 0
	v_mov_b32_e32 v0, v31
	v_mad_co_u64_u32 v[20:21], null, s0, v38, 0
	s_delay_alu instid0(VALU_DEP_4)
	v_add_co_u32 v22, vcc_lo, v33, v1
	s_wait_alu 0xfffd
	v_add_co_ci_u32_e32 v23, vcc_lo, v34, v2, vcc_lo
	v_mov_b32_e32 v13, v25
	v_mad_co_u64_u32 v[3:4], null, s1, v40, v[0:1]
	v_mov_b32_e32 v0, v9
	s_delay_alu instid0(VALU_DEP_1) | instskip(NEXT) | instid1(VALU_DEP_3)
	v_mad_co_u64_u32 v[9:10], null, s1, v39, v[0:1]
	v_dual_mov_b32 v31, v3 :: v_dual_mov_b32 v10, v21
	ds_load_b128 v[0:3], v32 offset:1056
	ds_load_b128 v[4:7], v32 offset:1232
	v_lshlrev_b64_e32 v[11:12], 4, v[30:31]
	v_lshlrev_b64_e32 v[28:29], 4, v[8:9]
	s_delay_alu instid0(VALU_DEP_2) | instskip(NEXT) | instid1(VALU_DEP_1)
	v_mad_co_u64_u32 v[14:15], null, s1, v38, v[10:11]
	v_mov_b32_e32 v21, v14
	v_mad_co_u64_u32 v[25:26], null, s1, v37, v[13:14]
	v_add_co_u32 v26, vcc_lo, v33, v11
	s_wait_alu 0xfffd
	v_add_co_ci_u32_e32 v27, vcc_lo, v34, v12, vcc_lo
	ds_load_b128 v[8:11], v32 offset:1408
	ds_load_b128 v[12:15], v32 offset:1584
	;; [unrolled: 1-line block ×3, first 2 shown]
	v_lshlrev_b64_e32 v[20:21], 4, v[20:21]
	v_add_co_u32 v28, vcc_lo, v33, v28
	v_lshlrev_b64_e32 v[24:25], 4, v[24:25]
	s_wait_alu 0xfffd
	v_add_co_ci_u32_e32 v29, vcc_lo, v34, v29, vcc_lo
	s_delay_alu instid0(VALU_DEP_4)
	v_add_co_u32 v20, vcc_lo, v33, v20
	s_wait_alu 0xfffd
	v_add_co_ci_u32_e32 v21, vcc_lo, v34, v21, vcc_lo
	v_add_co_u32 v24, vcc_lo, v33, v24
	s_wait_alu 0xfffd
	v_add_co_ci_u32_e32 v25, vcc_lo, v34, v25, vcc_lo
	s_wait_dscnt 0x4
	global_store_b128 v[22:23], v[0:3], off
	s_wait_dscnt 0x3
	global_store_b128 v[26:27], v[4:7], off
	;; [unrolled: 2-line block ×5, first 2 shown]
.LBB0_19:
	s_nop 0
	s_sendmsg sendmsg(MSG_DEALLOC_VGPRS)
	s_endpgm
	.section	.rodata,"a",@progbits
	.p2align	6, 0x0
	.amdhsa_kernel fft_rtc_back_len121_factors_11_11_wgs_121_tpt_11_dp_ip_CI_sbcc_twdbase6_3step
		.amdhsa_group_segment_fixed_size 0
		.amdhsa_private_segment_fixed_size 0
		.amdhsa_kernarg_size 96
		.amdhsa_user_sgpr_count 2
		.amdhsa_user_sgpr_dispatch_ptr 0
		.amdhsa_user_sgpr_queue_ptr 0
		.amdhsa_user_sgpr_kernarg_segment_ptr 1
		.amdhsa_user_sgpr_dispatch_id 0
		.amdhsa_user_sgpr_private_segment_size 0
		.amdhsa_wavefront_size32 1
		.amdhsa_uses_dynamic_stack 0
		.amdhsa_enable_private_segment 0
		.amdhsa_system_sgpr_workgroup_id_x 1
		.amdhsa_system_sgpr_workgroup_id_y 0
		.amdhsa_system_sgpr_workgroup_id_z 0
		.amdhsa_system_sgpr_workgroup_info 0
		.amdhsa_system_vgpr_workitem_id 0
		.amdhsa_next_free_vgpr 230
		.amdhsa_next_free_sgpr 49
		.amdhsa_reserve_vcc 1
		.amdhsa_float_round_mode_32 0
		.amdhsa_float_round_mode_16_64 0
		.amdhsa_float_denorm_mode_32 3
		.amdhsa_float_denorm_mode_16_64 3
		.amdhsa_fp16_overflow 0
		.amdhsa_workgroup_processor_mode 1
		.amdhsa_memory_ordered 1
		.amdhsa_forward_progress 0
		.amdhsa_round_robin_scheduling 0
		.amdhsa_exception_fp_ieee_invalid_op 0
		.amdhsa_exception_fp_denorm_src 0
		.amdhsa_exception_fp_ieee_div_zero 0
		.amdhsa_exception_fp_ieee_overflow 0
		.amdhsa_exception_fp_ieee_underflow 0
		.amdhsa_exception_fp_ieee_inexact 0
		.amdhsa_exception_int_div_zero 0
	.end_amdhsa_kernel
	.text
.Lfunc_end0:
	.size	fft_rtc_back_len121_factors_11_11_wgs_121_tpt_11_dp_ip_CI_sbcc_twdbase6_3step, .Lfunc_end0-fft_rtc_back_len121_factors_11_11_wgs_121_tpt_11_dp_ip_CI_sbcc_twdbase6_3step
                                        ; -- End function
	.section	.AMDGPU.csdata,"",@progbits
; Kernel info:
; codeLenInByte = 11032
; NumSgprs: 51
; NumVgprs: 230
; ScratchSize: 0
; MemoryBound: 0
; FloatMode: 240
; IeeeMode: 1
; LDSByteSize: 0 bytes/workgroup (compile time only)
; SGPRBlocks: 6
; VGPRBlocks: 28
; NumSGPRsForWavesPerEU: 51
; NumVGPRsForWavesPerEU: 230
; Occupancy: 6
; WaveLimiterHint : 1
; COMPUTE_PGM_RSRC2:SCRATCH_EN: 0
; COMPUTE_PGM_RSRC2:USER_SGPR: 2
; COMPUTE_PGM_RSRC2:TRAP_HANDLER: 0
; COMPUTE_PGM_RSRC2:TGID_X_EN: 1
; COMPUTE_PGM_RSRC2:TGID_Y_EN: 0
; COMPUTE_PGM_RSRC2:TGID_Z_EN: 0
; COMPUTE_PGM_RSRC2:TIDIG_COMP_CNT: 0
	.text
	.p2alignl 7, 3214868480
	.fill 96, 4, 3214868480
	.type	__hip_cuid_2a0471c24241e2b9,@object ; @__hip_cuid_2a0471c24241e2b9
	.section	.bss,"aw",@nobits
	.globl	__hip_cuid_2a0471c24241e2b9
__hip_cuid_2a0471c24241e2b9:
	.byte	0                               ; 0x0
	.size	__hip_cuid_2a0471c24241e2b9, 1

	.ident	"AMD clang version 19.0.0git (https://github.com/RadeonOpenCompute/llvm-project roc-6.4.0 25133 c7fe45cf4b819c5991fe208aaa96edf142730f1d)"
	.section	".note.GNU-stack","",@progbits
	.addrsig
	.addrsig_sym __hip_cuid_2a0471c24241e2b9
	.amdgpu_metadata
---
amdhsa.kernels:
  - .args:
      - .actual_access:  read_only
        .address_space:  global
        .offset:         0
        .size:           8
        .value_kind:     global_buffer
      - .address_space:  global
        .offset:         8
        .size:           8
        .value_kind:     global_buffer
      - .offset:         16
        .size:           8
        .value_kind:     by_value
      - .actual_access:  read_only
        .address_space:  global
        .offset:         24
        .size:           8
        .value_kind:     global_buffer
      - .actual_access:  read_only
        .address_space:  global
        .offset:         32
        .size:           8
        .value_kind:     global_buffer
      - .offset:         40
        .size:           8
        .value_kind:     by_value
      - .actual_access:  read_only
        .address_space:  global
        .offset:         48
        .size:           8
        .value_kind:     global_buffer
      - .actual_access:  read_only
        .address_space:  global
        .offset:         56
        .size:           8
        .value_kind:     global_buffer
      - .offset:         64
        .size:           4
        .value_kind:     by_value
      - .actual_access:  read_only
        .address_space:  global
        .offset:         72
        .size:           8
        .value_kind:     global_buffer
      - .actual_access:  read_only
        .address_space:  global
        .offset:         80
        .size:           8
        .value_kind:     global_buffer
      - .address_space:  global
        .offset:         88
        .size:           8
        .value_kind:     global_buffer
    .group_segment_fixed_size: 0
    .kernarg_segment_align: 8
    .kernarg_segment_size: 96
    .language:       OpenCL C
    .language_version:
      - 2
      - 0
    .max_flat_workgroup_size: 121
    .name:           fft_rtc_back_len121_factors_11_11_wgs_121_tpt_11_dp_ip_CI_sbcc_twdbase6_3step
    .private_segment_fixed_size: 0
    .sgpr_count:     51
    .sgpr_spill_count: 0
    .symbol:         fft_rtc_back_len121_factors_11_11_wgs_121_tpt_11_dp_ip_CI_sbcc_twdbase6_3step.kd
    .uniform_work_group_size: 1
    .uses_dynamic_stack: false
    .vgpr_count:     230
    .vgpr_spill_count: 0
    .wavefront_size: 32
    .workgroup_processor_mode: 1
amdhsa.target:   amdgcn-amd-amdhsa--gfx1201
amdhsa.version:
  - 1
  - 2
...

	.end_amdgpu_metadata
